;; amdgpu-corpus repo=ROCm/rocFFT kind=compiled arch=gfx1201 opt=O3
	.text
	.amdgcn_target "amdgcn-amd-amdhsa--gfx1201"
	.amdhsa_code_object_version 6
	.protected	fft_rtc_fwd_len2700_factors_3_10_10_3_3_wgs_90_tpt_90_halfLds_sp_ip_CI_unitstride_sbrr_R2C_dirReg ; -- Begin function fft_rtc_fwd_len2700_factors_3_10_10_3_3_wgs_90_tpt_90_halfLds_sp_ip_CI_unitstride_sbrr_R2C_dirReg
	.globl	fft_rtc_fwd_len2700_factors_3_10_10_3_3_wgs_90_tpt_90_halfLds_sp_ip_CI_unitstride_sbrr_R2C_dirReg
	.p2align	8
	.type	fft_rtc_fwd_len2700_factors_3_10_10_3_3_wgs_90_tpt_90_halfLds_sp_ip_CI_unitstride_sbrr_R2C_dirReg,@function
fft_rtc_fwd_len2700_factors_3_10_10_3_3_wgs_90_tpt_90_halfLds_sp_ip_CI_unitstride_sbrr_R2C_dirReg: ; @fft_rtc_fwd_len2700_factors_3_10_10_3_3_wgs_90_tpt_90_halfLds_sp_ip_CI_unitstride_sbrr_R2C_dirReg
; %bb.0:
	s_clause 0x2
	s_load_b128 s[4:7], s[0:1], 0x0
	s_load_b64 s[8:9], s[0:1], 0x50
	s_load_b64 s[10:11], s[0:1], 0x18
	v_mul_u32_u24_e32 v1, 0x2d9, v0
	v_mov_b32_e32 v3, 0
	s_delay_alu instid0(VALU_DEP_2) | instskip(NEXT) | instid1(VALU_DEP_1)
	v_lshrrev_b32_e32 v1, 16, v1
	v_add_nc_u32_e32 v5, ttmp9, v1
	v_mov_b32_e32 v1, 0
	v_mov_b32_e32 v2, 0
	;; [unrolled: 1-line block ×3, first 2 shown]
	s_wait_kmcnt 0x0
	v_cmp_lt_u64_e64 s2, s[6:7], 2
	s_delay_alu instid0(VALU_DEP_1)
	s_and_b32 vcc_lo, exec_lo, s2
	s_cbranch_vccnz .LBB0_8
; %bb.1:
	s_load_b64 s[2:3], s[0:1], 0x10
	v_mov_b32_e32 v1, 0
	v_mov_b32_e32 v2, 0
	s_add_nc_u64 s[12:13], s[10:11], 8
	s_mov_b64 s[14:15], 1
	s_wait_kmcnt 0x0
	s_add_nc_u64 s[16:17], s[2:3], 8
	s_mov_b32 s3, 0
.LBB0_2:                                ; =>This Inner Loop Header: Depth=1
	s_load_b64 s[18:19], s[16:17], 0x0
                                        ; implicit-def: $vgpr7_vgpr8
	s_mov_b32 s2, exec_lo
	s_wait_kmcnt 0x0
	v_or_b32_e32 v4, s19, v6
	s_delay_alu instid0(VALU_DEP_1)
	v_cmpx_ne_u64_e32 0, v[3:4]
	s_wait_alu 0xfffe
	s_xor_b32 s20, exec_lo, s2
	s_cbranch_execz .LBB0_4
; %bb.3:                                ;   in Loop: Header=BB0_2 Depth=1
	s_cvt_f32_u32 s2, s18
	s_cvt_f32_u32 s21, s19
	s_sub_nc_u64 s[24:25], 0, s[18:19]
	s_wait_alu 0xfffe
	s_delay_alu instid0(SALU_CYCLE_1) | instskip(SKIP_1) | instid1(SALU_CYCLE_2)
	s_fmamk_f32 s2, s21, 0x4f800000, s2
	s_wait_alu 0xfffe
	v_s_rcp_f32 s2, s2
	s_delay_alu instid0(TRANS32_DEP_1) | instskip(SKIP_1) | instid1(SALU_CYCLE_2)
	s_mul_f32 s2, s2, 0x5f7ffffc
	s_wait_alu 0xfffe
	s_mul_f32 s21, s2, 0x2f800000
	s_wait_alu 0xfffe
	s_delay_alu instid0(SALU_CYCLE_2) | instskip(SKIP_1) | instid1(SALU_CYCLE_2)
	s_trunc_f32 s21, s21
	s_wait_alu 0xfffe
	s_fmamk_f32 s2, s21, 0xcf800000, s2
	s_cvt_u32_f32 s23, s21
	s_wait_alu 0xfffe
	s_delay_alu instid0(SALU_CYCLE_1) | instskip(SKIP_1) | instid1(SALU_CYCLE_2)
	s_cvt_u32_f32 s22, s2
	s_wait_alu 0xfffe
	s_mul_u64 s[26:27], s[24:25], s[22:23]
	s_wait_alu 0xfffe
	s_mul_hi_u32 s29, s22, s27
	s_mul_i32 s28, s22, s27
	s_mul_hi_u32 s2, s22, s26
	s_mul_i32 s30, s23, s26
	s_wait_alu 0xfffe
	s_add_nc_u64 s[28:29], s[2:3], s[28:29]
	s_mul_hi_u32 s21, s23, s26
	s_mul_hi_u32 s31, s23, s27
	s_add_co_u32 s2, s28, s30
	s_wait_alu 0xfffe
	s_add_co_ci_u32 s2, s29, s21
	s_mul_i32 s26, s23, s27
	s_add_co_ci_u32 s27, s31, 0
	s_wait_alu 0xfffe
	s_add_nc_u64 s[26:27], s[2:3], s[26:27]
	s_wait_alu 0xfffe
	v_add_co_u32 v4, s2, s22, s26
	s_delay_alu instid0(VALU_DEP_1) | instskip(SKIP_1) | instid1(VALU_DEP_1)
	s_cmp_lg_u32 s2, 0
	s_add_co_ci_u32 s23, s23, s27
	v_readfirstlane_b32 s22, v4
	s_wait_alu 0xfffe
	s_delay_alu instid0(VALU_DEP_1)
	s_mul_u64 s[24:25], s[24:25], s[22:23]
	s_wait_alu 0xfffe
	s_mul_hi_u32 s27, s22, s25
	s_mul_i32 s26, s22, s25
	s_mul_hi_u32 s2, s22, s24
	s_mul_i32 s28, s23, s24
	s_wait_alu 0xfffe
	s_add_nc_u64 s[26:27], s[2:3], s[26:27]
	s_mul_hi_u32 s21, s23, s24
	s_mul_hi_u32 s22, s23, s25
	s_wait_alu 0xfffe
	s_add_co_u32 s2, s26, s28
	s_add_co_ci_u32 s2, s27, s21
	s_mul_i32 s24, s23, s25
	s_add_co_ci_u32 s25, s22, 0
	s_wait_alu 0xfffe
	s_add_nc_u64 s[24:25], s[2:3], s[24:25]
	s_wait_alu 0xfffe
	v_add_co_u32 v4, s2, v4, s24
	s_delay_alu instid0(VALU_DEP_1) | instskip(SKIP_1) | instid1(VALU_DEP_1)
	s_cmp_lg_u32 s2, 0
	s_add_co_ci_u32 s2, s23, s25
	v_mul_hi_u32 v13, v5, v4
	s_wait_alu 0xfffe
	v_mad_co_u64_u32 v[7:8], null, v5, s2, 0
	v_mad_co_u64_u32 v[9:10], null, v6, v4, 0
	;; [unrolled: 1-line block ×3, first 2 shown]
	s_delay_alu instid0(VALU_DEP_3) | instskip(SKIP_1) | instid1(VALU_DEP_4)
	v_add_co_u32 v4, vcc_lo, v13, v7
	s_wait_alu 0xfffd
	v_add_co_ci_u32_e32 v7, vcc_lo, 0, v8, vcc_lo
	s_delay_alu instid0(VALU_DEP_2) | instskip(SKIP_1) | instid1(VALU_DEP_2)
	v_add_co_u32 v4, vcc_lo, v4, v9
	s_wait_alu 0xfffd
	v_add_co_ci_u32_e32 v4, vcc_lo, v7, v10, vcc_lo
	s_wait_alu 0xfffd
	v_add_co_ci_u32_e32 v7, vcc_lo, 0, v12, vcc_lo
	s_delay_alu instid0(VALU_DEP_2) | instskip(SKIP_1) | instid1(VALU_DEP_2)
	v_add_co_u32 v4, vcc_lo, v4, v11
	s_wait_alu 0xfffd
	v_add_co_ci_u32_e32 v9, vcc_lo, 0, v7, vcc_lo
	s_delay_alu instid0(VALU_DEP_2) | instskip(SKIP_1) | instid1(VALU_DEP_3)
	v_mul_lo_u32 v10, s19, v4
	v_mad_co_u64_u32 v[7:8], null, s18, v4, 0
	v_mul_lo_u32 v11, s18, v9
	s_delay_alu instid0(VALU_DEP_2) | instskip(NEXT) | instid1(VALU_DEP_2)
	v_sub_co_u32 v7, vcc_lo, v5, v7
	v_add3_u32 v8, v8, v11, v10
	s_delay_alu instid0(VALU_DEP_1) | instskip(SKIP_1) | instid1(VALU_DEP_1)
	v_sub_nc_u32_e32 v10, v6, v8
	s_wait_alu 0xfffd
	v_subrev_co_ci_u32_e64 v10, s2, s19, v10, vcc_lo
	v_add_co_u32 v11, s2, v4, 2
	s_wait_alu 0xf1ff
	v_add_co_ci_u32_e64 v12, s2, 0, v9, s2
	v_sub_co_u32 v13, s2, v7, s18
	v_sub_co_ci_u32_e32 v8, vcc_lo, v6, v8, vcc_lo
	s_wait_alu 0xf1ff
	v_subrev_co_ci_u32_e64 v10, s2, 0, v10, s2
	s_delay_alu instid0(VALU_DEP_3) | instskip(NEXT) | instid1(VALU_DEP_3)
	v_cmp_le_u32_e32 vcc_lo, s18, v13
	v_cmp_eq_u32_e64 s2, s19, v8
	s_wait_alu 0xfffd
	v_cndmask_b32_e64 v13, 0, -1, vcc_lo
	v_cmp_le_u32_e32 vcc_lo, s19, v10
	s_wait_alu 0xfffd
	v_cndmask_b32_e64 v14, 0, -1, vcc_lo
	v_cmp_le_u32_e32 vcc_lo, s18, v7
	;; [unrolled: 3-line block ×3, first 2 shown]
	s_wait_alu 0xfffd
	v_cndmask_b32_e64 v15, 0, -1, vcc_lo
	v_cmp_eq_u32_e32 vcc_lo, s19, v10
	s_wait_alu 0xf1ff
	s_delay_alu instid0(VALU_DEP_2)
	v_cndmask_b32_e64 v7, v15, v7, s2
	s_wait_alu 0xfffd
	v_cndmask_b32_e32 v10, v14, v13, vcc_lo
	v_add_co_u32 v13, vcc_lo, v4, 1
	s_wait_alu 0xfffd
	v_add_co_ci_u32_e32 v14, vcc_lo, 0, v9, vcc_lo
	s_delay_alu instid0(VALU_DEP_3) | instskip(SKIP_2) | instid1(VALU_DEP_3)
	v_cmp_ne_u32_e32 vcc_lo, 0, v10
	s_wait_alu 0xfffd
	v_cndmask_b32_e32 v10, v13, v11, vcc_lo
	v_cndmask_b32_e32 v8, v14, v12, vcc_lo
	v_cmp_ne_u32_e32 vcc_lo, 0, v7
	s_wait_alu 0xfffd
	s_delay_alu instid0(VALU_DEP_2)
	v_dual_cndmask_b32 v7, v4, v10 :: v_dual_cndmask_b32 v8, v9, v8
.LBB0_4:                                ;   in Loop: Header=BB0_2 Depth=1
	s_wait_alu 0xfffe
	s_and_not1_saveexec_b32 s2, s20
	s_cbranch_execz .LBB0_6
; %bb.5:                                ;   in Loop: Header=BB0_2 Depth=1
	v_cvt_f32_u32_e32 v4, s18
	s_sub_co_i32 s20, 0, s18
	s_delay_alu instid0(VALU_DEP_1) | instskip(NEXT) | instid1(TRANS32_DEP_1)
	v_rcp_iflag_f32_e32 v4, v4
	v_mul_f32_e32 v4, 0x4f7ffffe, v4
	s_delay_alu instid0(VALU_DEP_1) | instskip(SKIP_1) | instid1(VALU_DEP_1)
	v_cvt_u32_f32_e32 v4, v4
	s_wait_alu 0xfffe
	v_mul_lo_u32 v7, s20, v4
	s_delay_alu instid0(VALU_DEP_1) | instskip(NEXT) | instid1(VALU_DEP_1)
	v_mul_hi_u32 v7, v4, v7
	v_add_nc_u32_e32 v4, v4, v7
	s_delay_alu instid0(VALU_DEP_1) | instskip(NEXT) | instid1(VALU_DEP_1)
	v_mul_hi_u32 v4, v5, v4
	v_mul_lo_u32 v7, v4, s18
	v_add_nc_u32_e32 v8, 1, v4
	s_delay_alu instid0(VALU_DEP_2) | instskip(NEXT) | instid1(VALU_DEP_1)
	v_sub_nc_u32_e32 v7, v5, v7
	v_subrev_nc_u32_e32 v9, s18, v7
	v_cmp_le_u32_e32 vcc_lo, s18, v7
	s_wait_alu 0xfffd
	s_delay_alu instid0(VALU_DEP_2) | instskip(NEXT) | instid1(VALU_DEP_1)
	v_dual_cndmask_b32 v7, v7, v9 :: v_dual_cndmask_b32 v4, v4, v8
	v_cmp_le_u32_e32 vcc_lo, s18, v7
	s_delay_alu instid0(VALU_DEP_2) | instskip(SKIP_1) | instid1(VALU_DEP_1)
	v_add_nc_u32_e32 v8, 1, v4
	s_wait_alu 0xfffd
	v_dual_cndmask_b32 v7, v4, v8 :: v_dual_mov_b32 v8, v3
.LBB0_6:                                ;   in Loop: Header=BB0_2 Depth=1
	s_wait_alu 0xfffe
	s_or_b32 exec_lo, exec_lo, s2
	s_load_b64 s[20:21], s[12:13], 0x0
	s_delay_alu instid0(VALU_DEP_1)
	v_mul_lo_u32 v4, v8, s18
	v_mul_lo_u32 v11, v7, s19
	v_mad_co_u64_u32 v[9:10], null, v7, s18, 0
	s_add_nc_u64 s[14:15], s[14:15], 1
	s_add_nc_u64 s[12:13], s[12:13], 8
	s_wait_alu 0xfffe
	v_cmp_ge_u64_e64 s2, s[14:15], s[6:7]
	s_add_nc_u64 s[16:17], s[16:17], 8
	s_delay_alu instid0(VALU_DEP_2) | instskip(NEXT) | instid1(VALU_DEP_3)
	v_add3_u32 v4, v10, v11, v4
	v_sub_co_u32 v5, vcc_lo, v5, v9
	s_wait_alu 0xfffd
	s_delay_alu instid0(VALU_DEP_2) | instskip(SKIP_3) | instid1(VALU_DEP_2)
	v_sub_co_ci_u32_e32 v4, vcc_lo, v6, v4, vcc_lo
	s_and_b32 vcc_lo, exec_lo, s2
	s_wait_kmcnt 0x0
	v_mul_lo_u32 v6, s21, v5
	v_mul_lo_u32 v4, s20, v4
	v_mad_co_u64_u32 v[1:2], null, s20, v5, v[1:2]
	s_delay_alu instid0(VALU_DEP_1)
	v_add3_u32 v2, v6, v2, v4
	s_wait_alu 0xfffe
	s_cbranch_vccnz .LBB0_9
; %bb.7:                                ;   in Loop: Header=BB0_2 Depth=1
	v_dual_mov_b32 v5, v7 :: v_dual_mov_b32 v6, v8
	s_branch .LBB0_2
.LBB0_8:
	v_dual_mov_b32 v8, v6 :: v_dual_mov_b32 v7, v5
.LBB0_9:
	s_lshl_b64 s[2:3], s[6:7], 3
	v_mul_hi_u32 v3, 0x2d82d83, v0
	s_wait_alu 0xfffe
	s_add_nc_u64 s[2:3], s[10:11], s[2:3]
	s_load_b64 s[0:1], s[0:1], 0x20
	s_load_b64 s[2:3], s[2:3], 0x0
	s_delay_alu instid0(VALU_DEP_1) | instskip(NEXT) | instid1(VALU_DEP_1)
	v_mul_u32_u24_e32 v3, 0x5a, v3
	v_sub_nc_u32_e32 v56, v0, v3
	s_delay_alu instid0(VALU_DEP_1)
	v_add_nc_u32_e32 v60, 0x5a, v56
	v_add_nc_u32_e32 v69, 0xb4, v56
	;; [unrolled: 1-line block ×4, first 2 shown]
	s_wait_kmcnt 0x0
	v_cmp_gt_u64_e32 vcc_lo, s[0:1], v[7:8]
	v_mul_lo_u32 v3, s2, v8
	v_mul_lo_u32 v4, s3, v7
	v_mad_co_u64_u32 v[0:1], null, s2, v7, v[1:2]
	v_cmp_le_u64_e64 s0, s[0:1], v[7:8]
	v_add_nc_u32_e32 v66, 0x1c2, v56
	v_add_nc_u32_e32 v65, 0x21c, v56
	;; [unrolled: 1-line block ×5, first 2 shown]
	v_add3_u32 v1, v4, v1, v3
	s_and_saveexec_b32 s1, s0
	s_wait_alu 0xfffe
	s_xor_b32 s0, exec_lo, s1
; %bb.10:
	v_add_nc_u32_e32 v60, 0x5a, v56
	v_add_nc_u32_e32 v69, 0xb4, v56
	;; [unrolled: 1-line block ×9, first 2 shown]
; %bb.11:
	s_wait_alu 0xfffe
	s_or_saveexec_b32 s1, s0
	v_lshlrev_b64_e32 v[58:59], 3, v[0:1]
	s_wait_alu 0xfffe
	s_xor_b32 exec_lo, exec_lo, s1
	s_cbranch_execz .LBB0_13
; %bb.12:
	v_mov_b32_e32 v57, 0
	s_delay_alu instid0(VALU_DEP_2) | instskip(SKIP_2) | instid1(VALU_DEP_3)
	v_add_co_u32 v2, s0, s8, v58
	s_wait_alu 0xf1ff
	v_add_co_ci_u32_e64 v3, s0, s9, v59, s0
	v_lshlrev_b64_e32 v[0:1], 3, v[56:57]
	v_lshl_add_u32 v57, v56, 3, 0
	s_delay_alu instid0(VALU_DEP_1) | instskip(NEXT) | instid1(VALU_DEP_3)
	v_add_nc_u32_e32 v61, 0x400, v57
	v_add_co_u32 v0, s0, v2, v0
	s_wait_alu 0xf1ff
	s_delay_alu instid0(VALU_DEP_4)
	v_add_co_ci_u32_e64 v1, s0, v3, v1, s0
	v_add_nc_u32_e32 v74, 0x800, v57
	v_add_nc_u32_e32 v75, 0x1000, v57
	s_clause 0x1d
	global_load_b64 v[2:3], v[0:1], off
	global_load_b64 v[4:5], v[0:1], off offset:720
	global_load_b64 v[6:7], v[0:1], off offset:1440
	;; [unrolled: 1-line block ×29, first 2 shown]
	v_add_nc_u32_e32 v76, 0x1400, v57
	v_add_nc_u32_e32 v77, 0x1800, v57
	;; [unrolled: 1-line block ×11, first 2 shown]
	s_wait_loadcnt 0x1c
	ds_store_2addr_b64 v57, v[2:3], v[4:5] offset1:90
	s_wait_loadcnt 0x1a
	ds_store_2addr_b64 v61, v[6:7], v[8:9] offset0:52 offset1:142
	s_wait_loadcnt 0x18
	ds_store_2addr_b64 v74, v[10:11], v[12:13] offset0:104 offset1:194
	;; [unrolled: 2-line block ×14, first 2 shown]
.LBB0_13:
	s_or_b32 exec_lo, exec_lo, s1
	v_lshlrev_b32_e32 v57, 3, v56
	global_wb scope:SCOPE_SE
	s_wait_dscnt 0x0
	s_barrier_signal -1
	s_barrier_wait -1
	global_inv scope:SCOPE_SE
	v_add_nc_u32_e32 v84, 0, v57
	s_mov_b32 s1, exec_lo
	s_delay_alu instid0(VALU_DEP_1)
	v_add_nc_u32_e32 v102, 0x1800, v84
	v_add_nc_u32_e32 v61, 0x3800, v84
	ds_load_2addr_b64 v[12:15], v84 offset1:90
	ds_load_2addr_b64 v[16:19], v102 offset0:132 offset1:222
	ds_load_2addr_b64 v[20:23], v61 offset0:8 offset1:98
	s_wait_dscnt 0x0
	v_dual_add_f32 v40, v12, v16 :: v_dual_sub_f32 v75, v18, v22
	v_sub_f32_e32 v71, v16, v20
	v_dual_add_f32 v41, v13, v17 :: v_dual_add_nc_u32 v0, 0x400, v84
	v_dual_sub_f32 v73, v19, v23 :: v_dual_add_nc_u32 v88, 0x2000, v84
	v_dual_add_f32 v72, v18, v22 :: v_dual_add_nc_u32 v89, 0x3c00, v84
	ds_load_2addr_b64 v[8:11], v0 offset0:52 offset1:142
	ds_load_2addr_b64 v[24:27], v88 offset0:56 offset1:146
	v_add_f32_e32 v54, v16, v20
	v_add_f32_e32 v16, v14, v18
	v_add_nc_u32_e32 v76, 0x800, v84
	v_dual_add_f32 v45, v41, v21 :: v_dual_add_nc_u32 v92, 0x2400, v84
	s_delay_alu instid0(VALU_DEP_3)
	v_dual_add_f32 v46, v16, v22 :: v_dual_add_nc_u32 v93, 0x4000, v84
	v_dual_add_f32 v74, v19, v23 :: v_dual_add_nc_u32 v77, 0x1000, v84
	v_sub_f32_e32 v55, v17, v21
	v_dual_add_f32 v70, v17, v21 :: v_dual_add_f32 v17, v15, v19
	ds_load_2addr_b64 v[28:31], v89 offset0:60 offset1:150
	ds_load_2addr_b64 v[4:7], v76 offset0:104 offset1:194
	;; [unrolled: 1-line block ×5, first 2 shown]
	v_add_nc_u32_e32 v90, 0x2800, v84
	v_add_nc_u32_e32 v91, 0x4800, v84
	v_dual_add_f32 v44, v40, v20 :: v_dual_add_f32 v47, v17, v23
	v_fma_f32 v13, -0.5, v70, v13
	v_fma_f32 v14, -0.5, v72, v14
	s_wait_dscnt 0x5
	v_dual_add_f32 v42, v8, v24 :: v_dual_add_f32 v17, v10, v26
	v_dual_add_f32 v16, v9, v25 :: v_dual_add_nc_u32 v95, 0x4c00, v84
	s_wait_dscnt 0x4
	v_dual_fmac_f32 v15, -0.5, v74 :: v_dual_add_f32 v78, v24, v28
	v_add_f32_e32 v85, v27, v31
	v_sub_f32_e32 v79, v25, v29
	v_dual_add_f32 v80, v25, v29 :: v_dual_sub_f32 v81, v24, v28
	s_wait_dscnt 0x2
	v_dual_add_f32 v24, v11, v27 :: v_dual_add_f32 v25, v4, v32
	v_add_f32_e32 v50, v17, v30
	v_dual_add_f32 v48, v42, v28 :: v_dual_add_f32 v49, v16, v29
	s_delay_alu instid0(VALU_DEP_3)
	v_dual_add_f32 v51, v24, v31 :: v_dual_add_f32 v24, v5, v33
	s_wait_dscnt 0x1
	v_dual_add_f32 v52, v25, v36 :: v_dual_add_f32 v97, v34, v38
	v_add_f32_e32 v25, v6, v34
	v_dual_add_f32 v82, v26, v30 :: v_dual_add_f32 v87, v32, v36
	ds_load_2addr_b64 v[16:19], v90 offset0:160 offset1:250
	ds_load_2addr_b64 v[20:23], v91 offset0:36 offset1:126
	v_dual_sub_f32 v86, v26, v30 :: v_dual_add_f32 v53, v24, v37
	v_sub_f32_e32 v96, v33, v37
	v_dual_add_f32 v37, v33, v37 :: v_dual_add_f32 v24, v7, v35
	v_sub_f32_e32 v36, v32, v36
	v_dual_add_f32 v32, v25, v38 :: v_dual_add_nc_u32 v25, 0x1400, v84
	s_delay_alu instid0(VALU_DEP_3)
	v_dual_add_f32 v33, v24, v39 :: v_dual_add_nc_u32 v94, 0x3000, v84
	v_sub_f32_e32 v83, v27, v31
	ds_load_2addr_b64 v[24:27], v25 offset0:80 offset1:170
	ds_load_2addr_b64 v[28:31], v94 offset0:84 offset1:174
	;; [unrolled: 1-line block ×3, first 2 shown]
	v_sub_f32_e32 v34, v34, v38
	v_sub_f32_e32 v98, v35, v39
	v_add_f32_e32 v35, v35, v39
	v_fma_f32 v12, -0.5, v54, v12
	v_fma_f32 v8, -0.5, v78, v8
	s_wait_dscnt 0x3
	v_dual_add_f32 v38, v0, v16 :: v_dual_add_f32 v101, v17, v21
	v_dual_add_f32 v100, v1, v17 :: v_dual_sub_f32 v103, v16, v20
	v_dual_add_f32 v104, v2, v18 :: v_dual_add_f32 v107, v3, v19
	v_add_f32_e32 v39, v16, v20
	s_delay_alu instid0(VALU_DEP_4) | instskip(NEXT) | instid1(VALU_DEP_4)
	v_dual_add_f32 v16, v38, v20 :: v_dual_sub_f32 v99, v17, v21
	v_add_f32_e32 v17, v100, v21
	v_dual_add_f32 v105, v18, v22 :: v_dual_sub_f32 v106, v19, v23
	v_dual_add_f32 v108, v19, v23 :: v_dual_sub_f32 v109, v18, v22
	s_wait_dscnt 0x1
	v_dual_add_f32 v20, v24, v28 :: v_dual_add_f32 v21, v25, v29
	v_dual_add_f32 v18, v104, v22 :: v_dual_add_f32 v19, v107, v23
	v_add_f32_e32 v22, v26, v30
	s_wait_dscnt 0x0
	v_dual_add_f32 v38, v28, v40 :: v_dual_sub_f32 v111, v31, v43
	v_dual_sub_f32 v100, v29, v41 :: v_dual_sub_f32 v107, v28, v40
	v_dual_add_f32 v104, v29, v41 :: v_dual_add_f32 v23, v27, v31
	v_dual_add_f32 v20, v20, v40 :: v_dual_fmamk_f32 v29, v71, 0xbf5db3d7, v13
	v_fmamk_f32 v28, v55, 0x3f5db3d7, v12
	v_mad_u32_u24 v40, v56, 24, 0
	v_dual_add_f32 v21, v21, v41 :: v_dual_add_f32 v22, v22, v42
	v_fmac_f32_e32 v13, 0x3f5db3d7, v71
	v_fmac_f32_e32 v12, 0xbf5db3d7, v55
	v_dual_add_f32 v110, v30, v42 :: v_dual_add_f32 v23, v23, v43
	v_dual_add_f32 v112, v31, v43 :: v_dual_sub_f32 v113, v30, v42
	global_wb scope:SCOPE_SE
	s_barrier_signal -1
	s_barrier_wait -1
	global_inv scope:SCOPE_SE
	v_fmamk_f32 v30, v73, 0x3f5db3d7, v14
	v_fmamk_f32 v31, v75, 0xbf5db3d7, v15
	v_fmac_f32_e32 v15, 0x3f5db3d7, v75
	v_mad_i32_i24 v41, v60, 24, 0
	ds_store_2addr_b64 v40, v[44:45], v[28:29] offset1:1
	ds_store_b64 v40, v[12:13] offset:16
	v_fma_f32 v9, -0.5, v80, v9
	v_fma_f32 v10, -0.5, v82, v10
	v_fmamk_f32 v12, v79, 0x3f5db3d7, v8
	v_dual_fmac_f32 v8, 0xbf5db3d7, v79 :: v_dual_fmac_f32 v11, -0.5, v85
	s_delay_alu instid0(VALU_DEP_4)
	v_dual_fmac_f32 v14, 0xbf5db3d7, v73 :: v_dual_fmamk_f32 v13, v81, 0xbf5db3d7, v9
	ds_store_2addr_b64 v41, v[46:47], v[30:31] offset1:1
	ds_store_b64 v41, v[14:15] offset:16
	v_fmamk_f32 v14, v83, 0x3f5db3d7, v10
	v_dual_fmac_f32 v10, 0xbf5db3d7, v83 :: v_dual_fmamk_f32 v15, v86, 0xbf5db3d7, v11
	v_fma_f32 v4, -0.5, v87, v4
	v_fma_f32 v5, -0.5, v37, v5
	v_mad_i32_i24 v42, v69, 24, 0
	v_mad_i32_i24 v43, v68, 24, 0
	v_and_b32_e32 v79, 0xff, v60
	v_fmac_f32_e32 v9, 0x3f5db3d7, v81
	v_fmac_f32_e32 v11, 0x3f5db3d7, v86
	v_fma_f32 v6, -0.5, v97, v6
	v_fmamk_f32 v28, v96, 0x3f5db3d7, v4
	v_dual_fmac_f32 v4, 0xbf5db3d7, v96 :: v_dual_fmamk_f32 v29, v36, 0xbf5db3d7, v5
	s_delay_alu instid0(VALU_DEP_3)
	v_dual_fmac_f32 v7, -0.5, v35 :: v_dual_fmamk_f32 v30, v98, 0x3f5db3d7, v6
	v_fma_f32 v0, -0.5, v39, v0
	v_fma_f32 v1, -0.5, v101, v1
	ds_store_2addr_b64 v42, v[48:49], v[12:13] offset1:1
	ds_store_b64 v42, v[8:9] offset:16
	v_mad_i32_i24 v8, v67, 24, 0
	ds_store_2addr_b64 v43, v[50:51], v[14:15] offset1:1
	ds_store_b64 v43, v[10:11] offset:16
	v_and_b32_e32 v78, 0xffff, v69
	v_mul_lo_u16 v10, 0xab, v79
	v_fmac_f32_e32 v5, 0x3f5db3d7, v36
	v_dual_fmac_f32 v6, 0xbf5db3d7, v98 :: v_dual_fmamk_f32 v31, v34, 0xbf5db3d7, v7
	v_dual_fmac_f32 v7, 0x3f5db3d7, v34 :: v_dual_fmamk_f32 v34, v99, 0x3f5db3d7, v0
	v_fma_f32 v2, -0.5, v105, v2
	v_dual_fmac_f32 v0, 0xbf5db3d7, v99 :: v_dual_fmamk_f32 v35, v103, 0xbf5db3d7, v1
	v_fmac_f32_e32 v1, 0x3f5db3d7, v103
	v_fmac_f32_e32 v3, -0.5, v108
	ds_store_2addr_b64 v8, v[52:53], v[28:29] offset1:1
	ds_store_b64 v8, v[4:5] offset:16
	v_mul_u32_u24_e32 v4, 0xaaab, v78
	v_lshrrev_b16 v103, 9, v10
	v_fmamk_f32 v36, v106, 0x3f5db3d7, v2
	v_fmac_f32_e32 v2, 0xbf5db3d7, v106
	v_fma_f32 v24, -0.5, v38, v24
	v_fmamk_f32 v37, v109, 0xbf5db3d7, v3
	v_mad_i32_i24 v9, v66, 24, 0
	v_mad_i32_i24 v86, v65, 24, 0
	;; [unrolled: 1-line block ×3, first 2 shown]
	v_lshrrev_b32_e32 v80, 17, v4
	v_mul_lo_u16 v4, v103, 3
	v_and_b32_e32 v81, 0xff, v56
	v_dual_fmac_f32 v3, 0x3f5db3d7, v109 :: v_dual_fmamk_f32 v38, v100, 0x3f5db3d7, v24
	v_fma_f32 v25, -0.5, v104, v25
	v_fmac_f32_e32 v24, 0xbf5db3d7, v100
	ds_store_2addr_b64 v9, v[32:33], v[30:31] offset1:1
	ds_store_b64 v9, v[6:7] offset:16
	ds_store_2addr_b64 v86, v[16:17], v[34:35] offset1:1
	ds_store_b64 v86, v[0:1] offset:16
	v_mul_lo_u16 v1, v80, 3
	v_sub_nc_u16 v4, v60, v4
	ds_store_2addr_b64 v5, v[18:19], v[36:37] offset1:1
	ds_store_b64 v5, v[2:3] offset:16
	v_mul_lo_u16 v2, 0xab, v81
	v_fma_f32 v26, -0.5, v110, v26
	v_fmamk_f32 v39, v107, 0xbf5db3d7, v25
	v_mad_i32_i24 v0, v63, 24, 0
	v_sub_nc_u16 v1, v69, v1
	v_and_b32_e32 v83, 0xff, v4
	v_lshrrev_b16 v104, 9, v2
	v_fmac_f32_e32 v25, 0x3f5db3d7, v107
	v_dual_fmac_f32 v27, -0.5, v112 :: v_dual_fmamk_f32 v40, v111, 0x3f5db3d7, v26
	v_fmac_f32_e32 v26, 0xbf5db3d7, v111
	ds_store_2addr_b64 v0, v[20:21], v[38:39] offset1:1
	ds_store_b64 v0, v[24:25] offset:16
	v_and_b32_e32 v82, 0xffff, v1
	v_mul_u32_u24_e32 v0, 9, v83
	v_mul_lo_u16 v1, v104, 3
	v_mad_i32_i24 v85, v62, 24, 0
	v_lshl_add_u32 v87, v68, 3, 0
	v_mul_u32_u24_e32 v2, 9, v82
	v_lshlrev_b32_e32 v48, 3, v0
	v_sub_nc_u16 v0, v56, v1
	v_lshl_add_u32 v101, v60, 3, 0
	v_lshl_add_u32 v100, v69, 3, 0
	v_lshlrev_b32_e32 v49, 3, v2
	s_delay_alu instid0(VALU_DEP_4) | instskip(NEXT) | instid1(VALU_DEP_1)
	v_and_b32_e32 v105, 0xff, v0
	v_mul_u32_u24_e32 v0, 9, v105
	v_fmamk_f32 v41, v113, 0xbf5db3d7, v27
	s_delay_alu instid0(VALU_DEP_2)
	v_dual_fmac_f32 v27, 0x3f5db3d7, v113 :: v_dual_lshlrev_b32 v50, 3, v0
	ds_store_2addr_b64 v85, v[22:23], v[40:41] offset1:1
	ds_store_b64 v85, v[26:27] offset:16
	global_wb scope:SCOPE_SE
	s_wait_dscnt 0x0
	s_barrier_signal -1
	s_barrier_wait -1
	global_inv scope:SCOPE_SE
	s_clause 0xe
	global_load_b128 v[20:23], v48, s[4:5]
	global_load_b128 v[16:19], v49, s[4:5]
	;; [unrolled: 1-line block ×3, first 2 shown]
	global_load_b128 v[8:11], v50, s[4:5] offset:16
	global_load_b128 v[4:7], v48, s[4:5] offset:16
	;; [unrolled: 1-line block ×9, first 2 shown]
	global_load_b64 v[72:73], v50, s[4:5] offset:64
	global_load_b64 v[70:71], v48, s[4:5] offset:64
	;; [unrolled: 1-line block ×3, first 2 shown]
	ds_load_2addr_b64 v[52:55], v76 offset0:104 offset1:194
	ds_load_2addr_b64 v[48:51], v77 offset0:118 offset1:208
	v_lshlrev_b32_e32 v97, 4, v62
	s_delay_alu instid0(VALU_DEP_1) | instskip(SKIP_4) | instid1(VALU_DEP_2)
	v_sub_nc_u32_e32 v98, v85, v97
	s_wait_loadcnt_dscnt 0xe00
	v_dual_mul_f32 v131, v48, v23 :: v_dual_lshlrev_b32 v96, 4, v65
	v_mul_f32_e32 v106, v52, v21
	s_wait_loadcnt 0xd
	v_dual_mul_f32 v120, v55, v17 :: v_dual_fmac_f32 v131, v49, v22
	s_delay_alu instid0(VALU_DEP_3)
	v_sub_nc_u32_e32 v99, v86, v96
	ds_load_b64 v[127:128], v99
	ds_load_b64 v[129:130], v98
	ds_load_2addr_b64 v[107:110], v88 offset0:56 offset1:146
	ds_load_b64 v[123:124], v87
	ds_load_2addr_b64 v[111:114], v102 offset0:132 offset1:222
	ds_load_2addr_b64 v[115:118], v92 offset0:108 offset1:198
	v_dual_mul_f32 v17, v54, v17 :: v_dual_fmac_f32 v106, v53, v20
	s_wait_loadcnt_dscnt 0xa03
	v_mul_f32_e32 v134, v109, v7
	v_mul_f32_e32 v119, v53, v21
	;; [unrolled: 1-line block ×4, first 2 shown]
	s_delay_alu instid0(VALU_DEP_4) | instskip(NEXT) | instid1(VALU_DEP_4)
	v_dual_fmac_f32 v17, v55, v16 :: v_dual_fmac_f32 v134, v110, v6
	v_fma_f32 v52, v52, v20, -v119
	s_delay_alu instid0(VALU_DEP_4)
	v_fma_f32 v132, v48, v22, -v21
	ds_load_b64 v[22:23], v101
	ds_load_b64 v[20:21], v100
	v_mul_f32_e32 v48, v50, v19
	v_fma_f32 v19, v54, v16, -v120
	ds_load_2addr_b64 v[119:122], v94 offset0:84 offset1:174
	s_wait_dscnt 0x5
	v_mul_f32_e32 v16, v13, v124
	v_mul_f32_e32 v55, v13, v123
	v_fma_f32 v13, v50, v18, -v49
	v_dual_fmac_f32 v48, v51, v18 :: v_dual_mul_f32 v51, v129, v9
	s_delay_alu instid0(VALU_DEP_4) | instskip(NEXT) | instid1(VALU_DEP_4)
	v_fma_f32 v50, v12, v123, -v16
	v_fmac_f32_e32 v55, v12, v124
	ds_load_2addr_b64 v[123:126], v90 offset0:160 offset1:250
	v_dual_mul_f32 v12, v130, v9 :: v_dual_mul_f32 v9, v108, v11
	v_mul_f32_e32 v133, v107, v11
	v_mul_f32_e32 v11, v110, v7
	s_wait_dscnt 0x5
	v_mul_f32_e32 v7, v112, v5
	v_dual_mul_f32 v137, v111, v5 :: v_dual_mul_f32 v18, v128, v15
	s_wait_loadcnt_dscnt 0x804
	v_dual_mul_f32 v49, v127, v15 :: v_dual_mul_f32 v140, v117, v29
	s_delay_alu instid0(VALU_DEP_3) | instskip(NEXT) | instid1(VALU_DEP_3)
	v_fma_f32 v139, v111, v4, -v7
	v_fmac_f32_e32 v137, v112, v4
	v_mul_f32_e32 v4, v116, v3
	v_mul_f32_e32 v7, v115, v3
	v_fma_f32 v18, v127, v14, -v18
	v_dual_fmac_f32 v49, v128, v14 :: v_dual_fmac_f32 v140, v118, v28
	v_fma_f32 v135, v129, v8, -v12
	v_fma_f32 v136, v107, v10, -v9
	;; [unrolled: 1-line block ×3, first 2 shown]
	v_fmac_f32_e32 v7, v116, v2
	s_wait_dscnt 0x1
	v_dual_mul_f32 v2, v120, v31 :: v_dual_fmac_f32 v51, v130, v8
	ds_load_2addr_b64 v[127:130], v61 offset0:8 offset1:98
	v_mul_f32_e32 v5, v114, v1
	v_mul_f32_e32 v1, v113, v1
	s_wait_loadcnt_dscnt 0x601
	v_dual_mul_f32 v115, v119, v31 :: v_dual_mul_f32 v4, v126, v33
	ds_load_b64 v[53:54], v84
	v_fma_f32 v3, v113, v0, -v5
	v_fmac_f32_e32 v1, v114, v0
	v_mul_f32_e32 v0, v118, v29
	ds_load_2addr_b64 v[111:114], v89 offset0:60 offset1:150
	v_fma_f32 v118, v119, v30, -v2
	v_fmac_f32_e32 v115, v120, v30
	v_mul_f32_e32 v2, v124, v37
	v_fma_f32 v116, v117, v28, -v0
	v_dual_mul_f32 v0, v122, v39 :: v_dual_fmac_f32 v133, v108, v10
	ds_load_2addr_b64 v[28:31], v91 offset0:36 offset1:126
	v_mul_f32_e32 v117, v121, v39
	v_mul_f32_e32 v119, v123, v37
	v_fma_f32 v120, v121, v38, -v0
	v_mul_f32_e32 v0, v125, v33
	v_fma_f32 v138, v109, v6, -v11
	ds_load_2addr_b64 v[107:110], v93 offset0:112 offset1:202
	v_fma_f32 v4, v125, v32, -v4
	v_fma_f32 v121, v123, v36, -v2
	v_fmac_f32_e32 v0, v126, v32
	s_wait_loadcnt_dscnt 0x504
	v_dual_mul_f32 v32, v129, v25 :: v_dual_fmac_f32 v119, v124, v36
	v_mul_f32_e32 v2, v128, v35
	v_mul_f32_e32 v10, v127, v35
	s_wait_loadcnt_dscnt 0x402
	v_mul_f32_e32 v14, v112, v41
	v_fmac_f32_e32 v32, v130, v24
	v_fma_f32 v12, v127, v34, -v2
	v_fmac_f32_e32 v10, v128, v34
	s_wait_loadcnt 0x3
	v_mul_f32_e32 v2, v113, v45
	s_wait_loadcnt_dscnt 0x201
	v_dual_mul_f32 v16, v31, v73 :: v_dual_fmac_f32 v117, v122, v38
	ds_load_2addr_b64 v[36:39], v95 offset0:88 offset1:178
	global_wb scope:SCOPE_SE
	s_wait_loadcnt_dscnt 0x0
	v_fmac_f32_e32 v2, v114, v44
	s_barrier_signal -1
	v_mul_f32_e32 v6, v108, v27
	v_mul_f32_e32 v27, v107, v27
	;; [unrolled: 1-line block ×4, first 2 shown]
	s_barrier_wait -1
	v_fma_f32 v34, v107, v26, -v6
	v_dual_fmac_f32 v27, v108, v26 :: v_dual_mul_f32 v26, v30, v73
	v_mul_f32_e32 v5, v130, v25
	v_mul_f32_e32 v11, v28, v47
	v_sub_f32_e32 v108, v133, v115
	global_inv scope:SCOPE_SE
	v_dual_fmac_f32 v26, v31, v72 :: v_dual_mul_f32 v15, v29, v47
	v_fma_f32 v33, v129, v24, -v5
	v_mul_f32_e32 v5, v114, v45
	v_fma_f32 v45, v109, v42, -v8
	v_dual_sub_f32 v24, v135, v116 :: v_dual_fmac_f32 v43, v110, v42
	v_fma_f32 v42, v111, v40, -v14
	v_fma_f32 v14, v28, v46, -v15
	;; [unrolled: 1-line block ×3, first 2 shown]
	v_sub_f32_e32 v30, v51, v26
	v_dual_mul_f32 v41, v111, v41 :: v_dual_mul_f32 v8, v37, v71
	v_dual_mul_f32 v15, v39, v75 :: v_dual_add_f32 v16, v140, v32
	v_sub_f32_e32 v31, v116, v33
	s_delay_alu instid0(VALU_DEP_3)
	v_fmac_f32_e32 v41, v112, v40
	v_mul_f32_e32 v40, v36, v71
	v_sub_f32_e32 v110, v136, v118
	v_fma_f32 v35, -0.5, v16, v55
	v_sub_f32_e32 v16, v51, v140
	v_fma_f32 v6, v113, v44, -v5
	v_fma_f32 v44, v36, v70, -v8
	v_fmac_f32_e32 v40, v37, v70
	v_add_f32_e32 v70, v53, v18
	v_fma_f32 v8, v38, v74, -v15
	v_add_f32_e32 v15, v116, v33
	v_mul_f32_e32 v5, v38, v75
	v_dual_sub_f32 v37, v28, v33 :: v_dual_add_f32 v114, v18, v34
	s_delay_alu instid0(VALU_DEP_3) | instskip(NEXT) | instid1(VALU_DEP_3)
	v_fma_f32 v36, -0.5, v15, v50
	v_fmac_f32_e32 v5, v39, v74
	v_sub_f32_e32 v15, v26, v32
	v_sub_f32_e32 v39, v140, v32
	s_delay_alu instid0(VALU_DEP_4) | instskip(SKIP_2) | instid1(VALU_DEP_3)
	v_dual_add_f32 v37, v24, v37 :: v_dual_fmamk_f32 v38, v30, 0x3f737871, v36
	v_sub_f32_e32 v24, v49, v133
	v_fmac_f32_e32 v36, 0xbf737871, v30
	v_dual_fmac_f32 v38, 0x3f167918, v39 :: v_dual_fmac_f32 v11, v29, v46
	v_dual_add_f32 v46, v16, v15 :: v_dual_sub_f32 v15, v18, v136
	v_dual_sub_f32 v16, v34, v118 :: v_dual_sub_f32 v29, v135, v28
	v_sub_f32_e32 v47, v27, v115
	s_delay_alu instid0(VALU_DEP_4) | instskip(NEXT) | instid1(VALU_DEP_3)
	v_dual_sub_f32 v75, v49, v27 :: v_dual_fmac_f32 v38, 0x3e9e377a, v37
	v_add_f32_e32 v72, v15, v16
	v_and_b32_e32 v15, 0xffff, v104
	s_delay_alu instid0(VALU_DEP_4) | instskip(SKIP_2) | instid1(VALU_DEP_4)
	v_dual_add_f32 v47, v24, v47 :: v_dual_add_f32 v16, v70, v136
	v_dual_fmamk_f32 v25, v29, 0xbf737871, v35 :: v_dual_lshlrev_b32 v24, 3, v105
	v_add_f32_e32 v70, v136, v118
	v_mul_u32_u24_e32 v15, 0xf0, v15
	s_delay_alu instid0(VALU_DEP_4)
	v_add_f32_e32 v16, v16, v118
	v_sub_f32_e32 v105, v18, v34
	v_sub_f32_e32 v18, v136, v18
	v_fma_f32 v70, -0.5, v70, v53
	v_add3_u32 v73, 0, v15, v24
	v_add_f32_e32 v24, v50, v135
	v_dual_fmac_f32 v25, 0xbf167918, v31 :: v_dual_add_f32 v74, v16, v34
	v_dual_add_f32 v15, v133, v115 :: v_dual_sub_f32 v34, v118, v34
	v_fmamk_f32 v107, v75, 0x3f737871, v70
	s_delay_alu instid0(VALU_DEP_3) | instskip(SKIP_1) | instid1(VALU_DEP_4)
	v_fmac_f32_e32 v25, 0x3e9e377a, v46
	v_fma_f32 v53, -0.5, v114, v53
	v_fma_f32 v104, -0.5, v15, v54
	s_delay_alu instid0(VALU_DEP_4) | instskip(NEXT) | instid1(VALU_DEP_4)
	v_dual_add_f32 v18, v18, v34 :: v_dual_fmac_f32 v107, 0x3f167918, v108
	v_mul_f32_e32 v71, 0x3f167918, v25
	s_delay_alu instid0(VALU_DEP_4) | instskip(SKIP_1) | instid1(VALU_DEP_4)
	v_fmamk_f32 v114, v108, 0xbf737871, v53
	v_dual_add_f32 v15, v24, v116 :: v_dual_sub_f32 v34, v133, v49
	v_fmac_f32_e32 v107, 0x3e9e377a, v72
	s_delay_alu instid0(VALU_DEP_4) | instskip(SKIP_1) | instid1(VALU_DEP_4)
	v_fmac_f32_e32 v71, 0x3f4f1bbd, v38
	v_mul_f32_e32 v38, 0xbf167918, v38
	v_dual_fmac_f32 v114, 0x3f167918, v75 :: v_dual_add_f32 v15, v15, v33
	v_fmac_f32_e32 v70, 0xbf737871, v75
	s_delay_alu instid0(VALU_DEP_3) | instskip(NEXT) | instid1(VALU_DEP_3)
	v_fmac_f32_e32 v38, 0x3f4f1bbd, v25
	v_dual_fmac_f32 v114, 0x3e9e377a, v18 :: v_dual_add_f32 v25, v54, v49
	v_add_f32_e32 v49, v49, v27
	s_delay_alu instid0(VALU_DEP_2) | instskip(NEXT) | instid1(VALU_DEP_2)
	v_dual_add_f32 v16, v25, v133 :: v_dual_add_f32 v25, v55, v51
	v_dual_fmac_f32 v54, -0.5, v49 :: v_dual_add_f32 v111, v15, v28
	s_delay_alu instid0(VALU_DEP_2) | instskip(NEXT) | instid1(VALU_DEP_2)
	v_add_f32_e32 v16, v16, v115
	v_dual_add_f32 v24, v25, v140 :: v_dual_fmamk_f32 v49, v110, 0x3f737871, v54
	v_fmac_f32_e32 v54, 0xbf737871, v110
	s_delay_alu instid0(VALU_DEP_3) | instskip(NEXT) | instid1(VALU_DEP_3)
	v_add_f32_e32 v112, v16, v27
	v_dual_add_f32 v24, v24, v32 :: v_dual_sub_f32 v27, v115, v27
	v_add_f32_e32 v115, v135, v28
	v_fmamk_f32 v109, v105, 0xbf737871, v104
	s_delay_alu instid0(VALU_DEP_3) | instskip(SKIP_1) | instid1(VALU_DEP_4)
	v_dual_sub_f32 v28, v33, v28 :: v_dual_add_f32 v113, v24, v26
	v_fmac_f32_e32 v54, 0x3f167918, v105
	v_dual_fmac_f32 v50, -0.5, v115 :: v_dual_fmac_f32 v53, 0x3f737871, v108
	v_fmac_f32_e32 v70, 0xbf167918, v108
	s_delay_alu instid0(VALU_DEP_2) | instskip(NEXT) | instid1(VALU_DEP_1)
	v_dual_add_f32 v16, v112, v113 :: v_dual_fmac_f32 v53, 0xbf167918, v75
	v_dual_fmac_f32 v53, 0x3e9e377a, v18 :: v_dual_add_f32 v18, v34, v27
	v_fmac_f32_e32 v109, 0xbf167918, v110
	v_sub_f32_e32 v27, v116, v135
	v_fmamk_f32 v33, v39, 0xbf737871, v50
	v_add_f32_e32 v34, v51, v26
	s_delay_alu instid0(VALU_DEP_4) | instskip(NEXT) | instid1(VALU_DEP_4)
	v_dual_fmac_f32 v54, 0x3e9e377a, v18 :: v_dual_fmac_f32 v109, 0x3e9e377a, v47
	v_dual_sub_f32 v26, v32, v26 :: v_dual_add_f32 v27, v27, v28
	s_delay_alu instid0(VALU_DEP_4) | instskip(NEXT) | instid1(VALU_DEP_3)
	v_dual_fmac_f32 v33, 0x3f167918, v30 :: v_dual_sub_f32 v28, v140, v51
	v_dual_add_f32 v25, v109, v38 :: v_dual_fmac_f32 v50, 0x3f737871, v39
	v_fmac_f32_e32 v104, 0x3f737871, v105
	s_delay_alu instid0(VALU_DEP_3) | instskip(SKIP_4) | instid1(VALU_DEP_4)
	v_fmac_f32_e32 v33, 0x3e9e377a, v27
	v_fmac_f32_e32 v55, -0.5, v34
	v_dual_add_f32 v15, v74, v111 :: v_dual_add_f32 v26, v28, v26
	v_fmac_f32_e32 v50, 0xbf167918, v30
	v_fmac_f32_e32 v36, 0xbf167918, v39
	v_fmamk_f32 v32, v31, 0x3f737871, v55
	v_fmac_f32_e32 v104, 0x3f167918, v110
	v_mul_f32_e32 v51, 0xbf737871, v33
	v_fmac_f32_e32 v50, 0x3e9e377a, v27
	v_fmac_f32_e32 v35, 0x3f737871, v29
	v_fmac_f32_e32 v32, 0xbf167918, v29
	v_fmac_f32_e32 v36, 0x3e9e377a, v37
	v_add_f32_e32 v24, v107, v71
	v_fmac_f32_e32 v104, 0x3e9e377a, v47
	v_fmac_f32_e32 v35, 0x3f167918, v31
	v_fmac_f32_e32 v32, 0x3e9e377a, v26
	v_sub_f32_e32 v30, v74, v111
	s_delay_alu instid0(VALU_DEP_2) | instskip(SKIP_2) | instid1(VALU_DEP_3)
	v_mul_f32_e32 v34, 0x3f737871, v32
	v_fmac_f32_e32 v51, 0x3e9e377a, v32
	v_mul_f32_e32 v32, 0x3f4f1bbd, v36
	v_fmac_f32_e32 v34, 0x3e9e377a, v33
	v_fmac_f32_e32 v55, 0xbf737871, v31
	;; [unrolled: 1-line block ×3, first 2 shown]
	v_dual_sub_f32 v31, v112, v113 :: v_dual_fmac_f32 v70, 0x3e9e377a, v72
	s_delay_alu instid0(VALU_DEP_3) | instskip(NEXT) | instid1(VALU_DEP_3)
	v_fmac_f32_e32 v55, 0x3f167918, v29
	v_fmac_f32_e32 v49, 0x3e9e377a, v18
	s_delay_alu instid0(VALU_DEP_2) | instskip(NEXT) | instid1(VALU_DEP_1)
	v_fmac_f32_e32 v55, 0x3e9e377a, v26
	v_dual_mul_f32 v26, 0x3e9e377a, v50 :: v_dual_mul_f32 v27, 0x3e9e377a, v55
	s_delay_alu instid0(VALU_DEP_1) | instskip(SKIP_2) | instid1(VALU_DEP_4)
	v_fma_f32 v18, 0x3f737871, v55, -v26
	v_add_f32_e32 v26, v114, v34
	v_sub_f32_e32 v34, v114, v34
	v_fma_f32 v50, 0xbf737871, v50, -v27
	v_add_f32_e32 v27, v49, v51
	v_add_f32_e32 v28, v53, v18
	s_delay_alu instid0(VALU_DEP_3)
	v_add_f32_e32 v29, v54, v50
	ds_store_2addr_b64 v73, v[15:16], v[24:25] offset1:3
	ds_store_2addr_b64 v73, v[26:27], v[28:29] offset0:6 offset1:9
	v_dual_add_f32 v24, v138, v120 :: v_dual_fmac_f32 v35, 0x3e9e377a, v46
	v_sub_f32_e32 v16, v54, v50
	v_sub_f32_e32 v26, v131, v43
	s_delay_alu instid0(VALU_DEP_3)
	v_dual_sub_f32 v28, v45, v120 :: v_dual_mul_f32 v33, 0x3f4f1bbd, v35
	v_fma_f32 v39, 0x3f167918, v35, -v32
	v_sub_f32_e32 v15, v53, v18
	v_fma_f32 v18, -0.5, v24, v22
	v_sub_f32_e32 v32, v107, v71
	v_fma_f32 v46, 0xbf167918, v36, -v33
	v_sub_f32_e32 v24, v70, v39
	v_dual_add_f32 v36, v70, v39 :: v_dual_sub_f32 v33, v109, v38
	v_sub_f32_e32 v35, v49, v51
	s_delay_alu instid0(VALU_DEP_4)
	v_add_f32_e32 v37, v104, v46
	v_sub_f32_e32 v25, v104, v46
	ds_store_2addr_b64 v73, v[36:37], v[30:31] offset0:12 offset1:15
	ds_store_2addr_b64 v73, v[32:33], v[34:35] offset0:18 offset1:21
	;; [unrolled: 1-line block ×3, first 2 shown]
	v_dual_add_f32 v16, v22, v132 :: v_dual_sub_f32 v25, v120, v45
	v_dual_fmamk_f32 v30, v26, 0x3f737871, v18 :: v_dual_add_f32 v29, v132, v45
	v_dual_fmac_f32 v18, 0xbf737871, v26 :: v_dual_sub_f32 v31, v134, v117
	s_delay_alu instid0(VALU_DEP_3) | instskip(SKIP_1) | instid1(VALU_DEP_4)
	v_add_f32_e32 v16, v16, v138
	v_sub_f32_e32 v27, v132, v138
	v_fma_f32 v24, -0.5, v29, v22
	v_sub_f32_e32 v22, v138, v132
	v_fmac_f32_e32 v30, 0x3f167918, v31
	s_delay_alu instid0(VALU_DEP_4) | instskip(SKIP_3) | instid1(VALU_DEP_4)
	v_dual_fmac_f32 v18, 0xbf167918, v31 :: v_dual_add_f32 v15, v27, v28
	v_dual_add_f32 v16, v16, v120 :: v_dual_sub_f32 v27, v43, v117
	v_fmamk_f32 v34, v31, 0xbf737871, v24
	v_fmac_f32_e32 v24, 0x3f737871, v31
	v_fmac_f32_e32 v30, 0x3e9e377a, v15
	;; [unrolled: 1-line block ×3, first 2 shown]
	v_dual_add_f32 v15, v23, v131 :: v_dual_add_f32 v22, v22, v25
	v_sub_f32_e32 v25, v131, v134
	v_add_f32_e32 v28, v131, v43
	v_fmac_f32_e32 v24, 0xbf167918, v26
	s_delay_alu instid0(VALU_DEP_4) | instskip(NEXT) | instid1(VALU_DEP_4)
	v_dual_add_f32 v15, v15, v134 :: v_dual_sub_f32 v36, v42, v44
	v_dual_add_f32 v25, v25, v27 :: v_dual_fmac_f32 v34, 0x3f167918, v26
	v_add_f32_e32 v26, v16, v45
	v_add_f32_e32 v16, v134, v117
	s_delay_alu instid0(VALU_DEP_4) | instskip(NEXT) | instid1(VALU_DEP_4)
	v_add_f32_e32 v15, v15, v117
	v_dual_sub_f32 v27, v134, v131 :: v_dual_fmac_f32 v34, 0x3e9e377a, v22
	v_sub_f32_e32 v33, v119, v41
	s_delay_alu instid0(VALU_DEP_4)
	v_fma_f32 v39, -0.5, v16, v23
	v_dual_fmac_f32 v23, -0.5, v28 :: v_dual_fmac_f32 v24, 0x3e9e377a, v22
	v_add_f32_e32 v28, v15, v43
	v_dual_sub_f32 v15, v117, v43 :: v_dual_sub_f32 v16, v138, v120
	v_sub_f32_e32 v38, v40, v41
	v_sub_f32_e32 v46, v7, v10
	s_delay_alu instid0(VALU_DEP_3) | instskip(NEXT) | instid1(VALU_DEP_4)
	v_dual_add_f32 v15, v27, v15 :: v_dual_sub_f32 v22, v132, v45
	v_fmamk_f32 v35, v16, 0x3f737871, v23
	v_fmac_f32_e32 v23, 0xbf737871, v16
	v_add_f32_e32 v45, v13, v14
	s_delay_alu instid0(VALU_DEP_4) | instskip(NEXT) | instid1(VALU_DEP_1)
	v_fmamk_f32 v31, v22, 0xbf737871, v39
	v_fmac_f32_e32 v31, 0xbf167918, v16
	v_fmac_f32_e32 v39, 0x3f737871, v22
	;; [unrolled: 1-line block ×3, first 2 shown]
	s_delay_alu instid0(VALU_DEP_3) | instskip(NEXT) | instid1(VALU_DEP_3)
	v_fmac_f32_e32 v31, 0x3e9e377a, v25
	v_dual_fmac_f32 v39, 0x3f167918, v16 :: v_dual_add_f32 v16, v121, v42
	v_dual_fmac_f32 v23, 0x3f167918, v22 :: v_dual_add_f32 v22, v139, v44
	v_sub_f32_e32 v29, v137, v40
	s_delay_alu instid0(VALU_DEP_3) | instskip(NEXT) | instid1(VALU_DEP_4)
	v_fmac_f32_e32 v39, 0x3e9e377a, v25
	v_fma_f32 v16, -0.5, v16, v52
	v_sub_f32_e32 v25, v139, v121
	s_delay_alu instid0(VALU_DEP_2) | instskip(NEXT) | instid1(VALU_DEP_1)
	v_dual_sub_f32 v27, v44, v42 :: v_dual_fmamk_f32 v32, v29, 0x3f737871, v16
	v_dual_fmac_f32 v16, 0xbf737871, v29 :: v_dual_add_f32 v25, v25, v27
	v_dual_add_f32 v27, v52, v139 :: v_dual_fmac_f32 v52, -0.5, v22
	v_sub_f32_e32 v22, v121, v139
	s_delay_alu instid0(VALU_DEP_1) | instskip(SKIP_1) | instid1(VALU_DEP_4)
	v_dual_fmac_f32 v23, 0x3e9e377a, v15 :: v_dual_add_f32 v22, v22, v36
	v_fmac_f32_e32 v32, 0x3f167918, v33
	v_fmamk_f32 v37, v33, 0xbf737871, v52
	v_add_f32_e32 v27, v27, v121
	v_fmac_f32_e32 v52, 0x3f737871, v33
	s_delay_alu instid0(VALU_DEP_4) | instskip(NEXT) | instid1(VALU_DEP_4)
	v_dual_fmac_f32 v35, 0x3e9e377a, v15 :: v_dual_fmac_f32 v32, 0x3e9e377a, v25
	v_dual_fmac_f32 v37, 0x3f167918, v29 :: v_dual_sub_f32 v36, v137, v119
	s_delay_alu instid0(VALU_DEP_3) | instskip(SKIP_1) | instid1(VALU_DEP_3)
	v_dual_add_f32 v15, v27, v42 :: v_dual_fmac_f32 v52, 0xbf167918, v29
	v_fmac_f32_e32 v16, 0xbf167918, v33
	v_fmac_f32_e32 v37, 0x3e9e377a, v22
	s_delay_alu instid0(VALU_DEP_3) | instskip(NEXT) | instid1(VALU_DEP_4)
	v_dual_add_f32 v36, v36, v38 :: v_dual_add_f32 v27, v15, v44
	v_dual_sub_f32 v15, v139, v44 :: v_dual_fmac_f32 v52, 0x3e9e377a, v22
	v_add_f32_e32 v22, v119, v41
	v_fmac_f32_e32 v16, 0x3e9e377a, v25
	s_delay_alu instid0(VALU_DEP_2) | instskip(SKIP_2) | instid1(VALU_DEP_3)
	v_fma_f32 v22, -0.5, v22, v106
	v_add_f32_e32 v29, v137, v40
	v_sub_f32_e32 v25, v121, v42
	v_dual_add_f32 v33, v106, v137 :: v_dual_fmamk_f32 v42, v15, 0xbf737871, v22
	s_delay_alu instid0(VALU_DEP_3) | instskip(SKIP_1) | instid1(VALU_DEP_3)
	v_dual_fmac_f32 v106, -0.5, v29 :: v_dual_sub_f32 v43, v41, v40
	v_fmac_f32_e32 v22, 0x3f737871, v15
	v_fmac_f32_e32 v42, 0xbf167918, v25
	s_delay_alu instid0(VALU_DEP_3) | instskip(SKIP_3) | instid1(VALU_DEP_3)
	v_fmamk_f32 v44, v25, 0x3f737871, v106
	v_add_f32_e32 v29, v33, v119
	v_sub_f32_e32 v33, v119, v137
	v_fmac_f32_e32 v106, 0xbf737871, v25
	v_dual_fmac_f32 v44, 0xbf167918, v15 :: v_dual_add_f32 v29, v29, v41
	s_delay_alu instid0(VALU_DEP_3) | instskip(NEXT) | instid1(VALU_DEP_2)
	v_add_f32_e32 v33, v33, v43
	v_dual_fmac_f32 v106, 0x3f167918, v15 :: v_dual_add_f32 v29, v29, v40
	s_delay_alu instid0(VALU_DEP_2) | instskip(NEXT) | instid1(VALU_DEP_2)
	v_fmac_f32_e32 v44, 0x3e9e377a, v33
	v_fmac_f32_e32 v106, 0x3e9e377a, v33
	v_mul_f32_e32 v40, 0xbf167918, v32
	s_delay_alu instid0(VALU_DEP_2) | instskip(NEXT) | instid1(VALU_DEP_1)
	v_mul_f32_e32 v15, 0x3e9e377a, v106
	v_fma_f32 v15, 0xbf737871, v52, -v15
	v_mul_f32_e32 v41, 0x3f737871, v44
	v_fmac_f32_e32 v42, 0x3e9e377a, v36
	v_fmac_f32_e32 v22, 0x3f167918, v25
	v_mul_f32_e32 v25, 0x3e9e377a, v52
	s_delay_alu instid0(VALU_DEP_4) | instskip(NEXT) | instid1(VALU_DEP_4)
	v_fmac_f32_e32 v41, 0x3e9e377a, v37
	v_mul_f32_e32 v38, 0x3f167918, v42
	s_delay_alu instid0(VALU_DEP_4)
	v_fmac_f32_e32 v22, 0x3e9e377a, v36
	v_fmac_f32_e32 v40, 0x3f4f1bbd, v42
	v_mul_f32_e32 v36, 0xbf737871, v37
	v_fma_f32 v25, 0x3f737871, v106, -v25
	v_fmac_f32_e32 v38, 0x3f4f1bbd, v32
	v_mul_f32_e32 v32, 0x3f4f1bbd, v16
	v_add_f32_e32 v37, v9, v12
	s_delay_alu instid0(VALU_DEP_2) | instskip(SKIP_3) | instid1(VALU_DEP_1)
	v_fma_f32 v42, 0x3f167918, v22, -v32
	v_add_f32_e32 v32, v34, v41
	v_dual_sub_f32 v34, v34, v41 :: v_dual_sub_f32 v41, v48, v11
	v_dual_mul_f32 v33, 0x3f4f1bbd, v22 :: v_dual_sub_f32 v22, v24, v25
	v_fma_f32 v43, 0xbf167918, v16, -v33
	v_add_f32_e32 v16, v23, v15
	v_sub_f32_e32 v23, v23, v15
	v_dual_add_f32 v15, v24, v25 :: v_dual_add_f32 v24, v26, v27
	v_dual_add_f32 v25, v28, v29 :: v_dual_sub_f32 v26, v26, v27
	v_sub_f32_e32 v27, v28, v29
	v_add_f32_e32 v29, v31, v40
	v_fmac_f32_e32 v36, 0x3e9e377a, v44
	v_add_f32_e32 v28, v30, v38
	v_dual_sub_f32 v30, v30, v38 :: v_dual_sub_f32 v31, v31, v40
	v_fma_f32 v40, -0.5, v37, v20
	s_delay_alu instid0(VALU_DEP_4)
	v_add_f32_e32 v33, v35, v36
	v_sub_f32_e32 v35, v35, v36
	v_dual_add_f32 v37, v39, v43 :: v_dual_sub_f32 v38, v18, v42
	v_sub_f32_e32 v39, v39, v43
	v_dual_sub_f32 v43, v9, v13 :: v_dual_add_f32 v36, v18, v42
	v_sub_f32_e32 v18, v13, v9
	v_sub_f32_e32 v42, v14, v12
	v_fmamk_f32 v44, v41, 0x3f737871, v40
	v_fmac_f32_e32 v40, 0xbf737871, v41
	s_delay_alu instid0(VALU_DEP_3) | instskip(SKIP_3) | instid1(VALU_DEP_2)
	v_add_f32_e32 v18, v18, v42
	v_fma_f32 v42, -0.5, v45, v20
	v_add_f32_e32 v20, v20, v13
	v_sub_f32_e32 v45, v12, v14
	v_dual_sub_f32 v13, v13, v14 :: v_dual_add_f32 v20, v20, v9
	v_sub_f32_e32 v9, v9, v12
	v_fmamk_f32 v47, v46, 0xbf737871, v42
	v_fmac_f32_e32 v42, 0x3f737871, v46
	v_dual_fmac_f32 v40, 0xbf167918, v46 :: v_dual_add_f32 v43, v43, v45
	s_delay_alu instid0(VALU_DEP_3) | instskip(NEXT) | instid1(VALU_DEP_3)
	v_dual_add_f32 v20, v20, v12 :: v_dual_fmac_f32 v47, 0x3f167918, v41
	v_dual_fmac_f32 v42, 0xbf167918, v41 :: v_dual_add_f32 v41, v7, v10
	v_add_f32_e32 v12, v48, v11
	v_fmac_f32_e32 v44, 0x3f167918, v46
	s_delay_alu instid0(VALU_DEP_4) | instskip(NEXT) | instid1(VALU_DEP_4)
	v_dual_fmac_f32 v40, 0x3e9e377a, v18 :: v_dual_fmac_f32 v47, 0x3e9e377a, v43
	v_dual_fmac_f32 v42, 0x3e9e377a, v43 :: v_dual_sub_f32 v43, v11, v10
	s_delay_alu instid0(VALU_DEP_3) | instskip(SKIP_4) | instid1(VALU_DEP_2)
	v_fmac_f32_e32 v44, 0x3e9e377a, v18
	v_add_f32_e32 v18, v20, v14
	v_sub_f32_e32 v14, v48, v7
	v_fma_f32 v41, -0.5, v41, v21
	v_sub_f32_e32 v46, v0, v2
	v_dual_add_f32 v14, v14, v43 :: v_dual_fmamk_f32 v43, v13, 0xbf737871, v41
	v_fmac_f32_e32 v41, 0x3f737871, v13
	s_delay_alu instid0(VALU_DEP_2) | instskip(NEXT) | instid1(VALU_DEP_2)
	v_fmac_f32_e32 v43, 0xbf167918, v9
	v_dual_fmac_f32 v41, 0x3f167918, v9 :: v_dual_add_f32 v20, v21, v48
	v_fmac_f32_e32 v21, -0.5, v12
	s_delay_alu instid0(VALU_DEP_2) | instskip(NEXT) | instid1(VALU_DEP_1)
	v_dual_fmac_f32 v41, 0x3e9e377a, v14 :: v_dual_add_f32 v20, v20, v7
	v_dual_sub_f32 v7, v7, v48 :: v_dual_add_f32 v20, v20, v10
	v_sub_f32_e32 v10, v10, v11
	s_delay_alu instid0(VALU_DEP_2)
	v_add_f32_e32 v12, v20, v11
	v_fmamk_f32 v20, v9, 0x3f737871, v21
	v_fmac_f32_e32 v21, 0xbf737871, v9
	v_add_f32_e32 v9, v4, v6
	v_sub_f32_e32 v11, v8, v6
	v_dual_fmac_f32 v43, 0x3e9e377a, v14 :: v_dual_sub_f32 v14, v1, v5
	v_sub_f32_e32 v48, v6, v8
	s_delay_alu instid0(VALU_DEP_4) | instskip(SKIP_1) | instid1(VALU_DEP_2)
	v_fma_f32 v9, -0.5, v9, v19
	v_fmac_f32_e32 v21, 0x3f167918, v13
	v_fmamk_f32 v45, v14, 0x3f737871, v9
	v_fmac_f32_e32 v9, 0xbf737871, v14
	s_delay_alu instid0(VALU_DEP_2) | instskip(SKIP_1) | instid1(VALU_DEP_1)
	v_fmac_f32_e32 v45, 0x3f167918, v46
	v_add_f32_e32 v7, v7, v10
	v_dual_sub_f32 v10, v3, v4 :: v_dual_fmac_f32 v21, 0x3e9e377a, v7
	s_delay_alu instid0(VALU_DEP_1) | instskip(SKIP_1) | instid1(VALU_DEP_1)
	v_add_f32_e32 v10, v10, v11
	v_add_f32_e32 v11, v19, v3
	v_dual_add_f32 v11, v11, v4 :: v_dual_fmac_f32 v20, 0xbf167918, v13
	v_fmac_f32_e32 v9, 0xbf167918, v46
	s_delay_alu instid0(VALU_DEP_2) | instskip(NEXT) | instid1(VALU_DEP_3)
	v_dual_add_f32 v13, v3, v8 :: v_dual_fmac_f32 v20, 0x3e9e377a, v7
	v_add_f32_e32 v7, v11, v6
	s_delay_alu instid0(VALU_DEP_2) | instskip(SKIP_2) | instid1(VALU_DEP_4)
	v_fmac_f32_e32 v19, -0.5, v13
	v_sub_f32_e32 v13, v4, v3
	v_dual_sub_f32 v3, v3, v8 :: v_dual_sub_f32 v4, v4, v6
	v_add_f32_e32 v7, v7, v8
	s_delay_alu instid0(VALU_DEP_4) | instskip(SKIP_2) | instid1(VALU_DEP_3)
	v_fmamk_f32 v49, v46, 0xbf737871, v19
	v_fmac_f32_e32 v19, 0x3f737871, v46
	v_add_f32_e32 v8, v0, v2
	v_dual_add_f32 v6, v1, v5 :: v_dual_fmac_f32 v49, 0x3f167918, v14
	v_add_f32_e32 v13, v13, v48
	s_delay_alu instid0(VALU_DEP_4) | instskip(SKIP_2) | instid1(VALU_DEP_4)
	v_fmac_f32_e32 v19, 0xbf167918, v14
	v_fmac_f32_e32 v45, 0x3e9e377a, v10
	v_dual_fmac_f32 v9, 0x3e9e377a, v10 :: v_dual_add_f32 v10, v17, v1
	v_fmac_f32_e32 v49, 0x3e9e377a, v13
	v_fma_f32 v8, -0.5, v8, v17
	v_fmac_f32_e32 v17, -0.5, v6
	v_sub_f32_e32 v11, v1, v0
	v_add_f32_e32 v6, v10, v0
	v_sub_f32_e32 v0, v0, v1
	v_dual_sub_f32 v10, v2, v5 :: v_dual_fmamk_f32 v1, v3, 0xbf737871, v8
	v_fmac_f32_e32 v8, 0x3f737871, v3
	v_fmamk_f32 v14, v4, 0x3f737871, v17
	v_fmac_f32_e32 v17, 0xbf737871, v4
	v_fmac_f32_e32 v19, 0x3e9e377a, v13
	v_sub_f32_e32 v13, v5, v2
	v_add_f32_e32 v0, v0, v10
	v_fmac_f32_e32 v14, 0xbf167918, v3
	v_dual_fmac_f32 v17, 0x3f167918, v3 :: v_dual_fmac_f32 v8, 0x3f167918, v4
	s_delay_alu instid0(VALU_DEP_4) | instskip(NEXT) | instid1(VALU_DEP_3)
	v_dual_add_f32 v11, v11, v13 :: v_dual_add_f32 v2, v6, v2
	v_fmac_f32_e32 v14, 0x3e9e377a, v0
	s_delay_alu instid0(VALU_DEP_3) | instskip(SKIP_1) | instid1(VALU_DEP_4)
	v_fmac_f32_e32 v17, 0x3e9e377a, v0
	v_fmac_f32_e32 v1, 0xbf167918, v4
	;; [unrolled: 1-line block ×3, first 2 shown]
	v_add_f32_e32 v10, v2, v5
	v_mul_f32_e32 v2, 0x3f4f1bbd, v9
	v_mul_f32_e32 v0, 0x3e9e377a, v17
	s_delay_alu instid0(VALU_DEP_4) | instskip(NEXT) | instid1(VALU_DEP_4)
	v_dual_sub_f32 v6, v18, v7 :: v_dual_mul_f32 v3, 0x3f4f1bbd, v8
	v_add_f32_e32 v5, v12, v10
	s_delay_alu instid0(VALU_DEP_3) | instskip(SKIP_2) | instid1(VALU_DEP_1)
	v_fma_f32 v0, 0xbf737871, v19, -v0
	v_mul_f32_e32 v46, 0xbf167918, v45
	v_mul_f32_e32 v48, 0x3f737871, v14
	v_dual_fmac_f32 v1, 0x3e9e377a, v11 :: v_dual_fmac_f32 v48, 0x3e9e377a, v49
	s_delay_alu instid0(VALU_DEP_1) | instskip(NEXT) | instid1(VALU_DEP_4)
	v_mul_f32_e32 v13, 0x3f167918, v1
	v_fmac_f32_e32 v46, 0x3f4f1bbd, v1
	v_mul_f32_e32 v1, 0x3e9e377a, v19
	s_delay_alu instid0(VALU_DEP_1) | instskip(NEXT) | instid1(VALU_DEP_4)
	v_fma_f32 v4, 0x3f737871, v17, -v1
	v_fmac_f32_e32 v13, 0x3f4f1bbd, v45
	v_mul_f32_e32 v45, 0xbf737871, v49
	v_fma_f32 v49, 0xbf167918, v9, -v3
	v_add_f32_e32 v1, v21, v0
	v_sub_f32_e32 v3, v21, v0
	v_and_b32_e32 v19, 0xffff, v103
	v_fmac_f32_e32 v45, 0x3e9e377a, v14
	v_mul_lo_u16 v21, 0x89, v81
	v_fma_f32 v14, 0x3f167918, v8, -v2
	v_add_f32_e32 v0, v42, v4
	v_sub_f32_e32 v2, v42, v4
	v_add_f32_e32 v8, v44, v13
	v_dual_add_f32 v4, v18, v7 :: v_dual_sub_f32 v7, v12, v10
	v_add_f32_e32 v12, v47, v48
	v_dual_add_f32 v9, v43, v46 :: v_dual_sub_f32 v10, v44, v13
	v_dual_sub_f32 v11, v43, v46 :: v_dual_sub_f32 v18, v20, v45
	v_add_f32_e32 v13, v20, v45
	v_dual_add_f32 v20, v41, v49 :: v_dual_lshlrev_b32 v43, 3, v83
	v_mul_u32_u24_e32 v42, 0xf0, v19
	v_lshrrev_b16 v107, 12, v21
	v_sub_f32_e32 v17, v47, v48
	v_add_f32_e32 v19, v40, v14
	v_sub_f32_e32 v40, v40, v14
	v_add3_u32 v14, 0, v42, v43
	v_mul_u32_u24_e32 v21, 0xf0, v80
	v_lshlrev_b32_e32 v42, 3, v82
	v_mul_lo_u16 v43, v107, 30
	ds_store_2addr_b64 v14, v[24:25], v[28:29] offset1:3
	ds_store_2addr_b64 v14, v[32:33], v[15:16] offset0:6 offset1:9
	v_mul_lo_u16 v15, 0x89, v79
	v_add3_u32 v16, 0, v21, v42
	v_sub_nc_u16 v21, v56, v43
	ds_store_2addr_b64 v14, v[36:37], v[26:27] offset0:12 offset1:15
	ds_store_2addr_b64 v14, v[30:31], v[34:35] offset0:18 offset1:21
	;; [unrolled: 1-line block ×3, first 2 shown]
	v_lshrrev_b16 v103, 12, v15
	ds_store_2addr_b64 v16, v[12:13], v[0:1] offset0:6 offset1:9
	v_and_b32_e32 v108, 0xff, v21
	ds_store_2addr_b64 v16, v[4:5], v[8:9] offset1:3
	ds_store_2addr_b64 v16, v[19:20], v[6:7] offset0:12 offset1:15
	v_mul_lo_u16 v0, v103, 30
	ds_store_2addr_b64 v16, v[10:11], v[17:18] offset0:18 offset1:21
	v_mul_u32_u24_e32 v1, 9, v108
	v_mul_u32_u24_e32 v4, 0x8889, v78
	v_sub_nc_u16 v0, v60, v0
	v_sub_f32_e32 v41, v41, v49
	s_delay_alu instid0(VALU_DEP_4) | instskip(NEXT) | instid1(VALU_DEP_4)
	v_lshlrev_b32_e32 v48, 3, v1
	v_lshrrev_b32_e32 v104, 20, v4
	s_delay_alu instid0(VALU_DEP_4)
	v_and_b32_e32 v106, 0xff, v0
	ds_store_2addr_b64 v16, v[2:3], v[40:41] offset0:24 offset1:27
	global_wb scope:SCOPE_SE
	s_wait_dscnt 0x0
	s_barrier_signal -1
	s_barrier_wait -1
	global_inv scope:SCOPE_SE
	global_load_b128 v[24:27], v48, s[4:5] offset:216
	v_mul_u32_u24_e32 v1, 9, v106
	v_mul_lo_u16 v2, v104, 30
	s_delay_alu instid0(VALU_DEP_2) | instskip(NEXT) | instid1(VALU_DEP_2)
	v_lshlrev_b32_e32 v49, 3, v1
	v_sub_nc_u16 v0, v69, v2
	global_load_b128 v[20:23], v49, s[4:5] offset:216
	v_and_b32_e32 v105, 0xffff, v0
	s_delay_alu instid0(VALU_DEP_1) | instskip(NEXT) | instid1(VALU_DEP_1)
	v_mul_u32_u24_e32 v0, 9, v105
	v_lshlrev_b32_e32 v50, 3, v0
	s_clause 0xc
	global_load_b128 v[16:19], v50, s[4:5] offset:216
	global_load_b128 v[8:11], v48, s[4:5] offset:232
	;; [unrolled: 1-line block ×10, first 2 shown]
	global_load_b64 v[70:71], v48, s[4:5] offset:280
	global_load_b64 v[72:73], v49, s[4:5] offset:280
	;; [unrolled: 1-line block ×3, first 2 shown]
	ds_load_b64 v[80:81], v87
	ds_load_b64 v[78:79], v99
	ds_load_2addr_b64 v[52:55], v76 offset0:104 offset1:194
	ds_load_2addr_b64 v[48:51], v77 offset0:118 offset1:208
	ds_load_b64 v[82:83], v101
	ds_load_b64 v[76:77], v100
	;; [unrolled: 1-line block ×4, first 2 shown]
	s_wait_loadcnt_dscnt 0xe07
	v_mul_f32_e32 v109, v25, v81
	v_mul_f32_e32 v117, v25, v80
	s_wait_dscnt 0x6
	v_mul_f32_e32 v25, v27, v79
	s_delay_alu instid0(VALU_DEP_3)
	v_fma_f32 v118, v24, v80, -v109
	ds_load_2addr_b64 v[109:112], v88 offset0:56 offset1:146
	v_fmac_f32_e32 v117, v24, v81
	v_mul_f32_e32 v119, v27, v78
	v_fma_f32 v120, v26, v78, -v25
	s_wait_loadcnt_dscnt 0xd06
	v_mul_f32_e32 v24, v53, v21
	s_wait_dscnt 0x5
	v_dual_mul_f32 v78, v49, v23 :: v_dual_mul_f32 v21, v52, v21
	s_delay_alu instid0(VALU_DEP_1) | instskip(NEXT) | instid1(VALU_DEP_2)
	v_fma_f32 v122, v48, v22, -v78
	v_fmac_f32_e32 v21, v53, v20
	s_wait_loadcnt_dscnt 0xb00
	v_mul_f32_e32 v124, v109, v11
	v_fmac_f32_e32 v119, v26, v79
	v_mul_f32_e32 v121, v48, v23
	v_fma_f32 v23, v52, v20, -v24
	ds_load_2addr_b64 v[24:27], v102 offset0:132 offset1:222
	v_fmac_f32_e32 v124, v110, v10
	v_dual_mul_f32 v20, v55, v17 :: v_dual_fmac_f32 v121, v49, v22
	v_mul_f32_e32 v22, v9, v116
	v_mul_f32_e32 v123, v9, v115
	;; [unrolled: 1-line block ×4, first 2 shown]
	v_fma_f32 v20, v54, v16, -v20
	ds_load_2addr_b64 v[78:81], v90 offset0:160 offset1:250
	s_wait_loadcnt_dscnt 0xa01
	v_mul_f32_e32 v110, v24, v1
	s_delay_alu instid0(VALU_DEP_1) | instskip(NEXT) | instid1(VALU_DEP_1)
	v_dual_mul_f32 v17, v54, v17 :: v_dual_fmac_f32 v110, v25, v0
	v_dual_fmac_f32 v17, v55, v16 :: v_dual_mul_f32 v16, v50, v19
	ds_load_2addr_b64 v[52:55], v92 offset0:108 offset1:198
	v_fma_f32 v19, v50, v18, -v48
	s_wait_loadcnt_dscnt 0x701
	v_dual_fmac_f32 v123, v8, v116 :: v_dual_mul_f32 v128, v78, v29
	v_fmac_f32_e32 v16, v51, v18
	ds_load_2addr_b64 v[48:51], v94 offset0:84 offset1:174
	v_fma_f32 v18, v8, v115, -v22
	v_fma_f32 v22, v109, v10, -v9
	v_mul_f32_e32 v8, v112, v3
	v_mul_f32_e32 v109, v111, v3
	v_dual_mul_f32 v3, v25, v1 :: v_dual_fmac_f32 v128, v79, v28
	s_delay_alu instid0(VALU_DEP_3) | instskip(SKIP_1) | instid1(VALU_DEP_3)
	v_fma_f32 v111, v111, v2, -v8
	s_wait_dscnt 0x1
	v_dual_fmac_f32 v109, v112, v2 :: v_dual_mul_f32 v2, v53, v7
	v_mul_f32_e32 v8, v52, v7
	v_fma_f32 v112, v24, v0, -v3
	v_mul_f32_e32 v3, v55, v13
	v_mul_f32_e32 v0, v26, v5
	v_fma_f32 v10, v52, v6, -v2
	s_wait_dscnt 0x0
	v_dual_mul_f32 v2, v49, v15 :: v_dual_mul_f32 v115, v54, v13
	v_fma_f32 v116, v54, v12, -v3
	v_mul_f32_e32 v3, v51, v31
	v_fmac_f32_e32 v0, v27, v4
	s_delay_alu instid0(VALU_DEP_4)
	v_fma_f32 v126, v48, v14, -v2
	s_wait_loadcnt 0x6
	v_mul_f32_e32 v2, v80, v33
	v_mul_f32_e32 v1, v27, v5
	v_dual_fmac_f32 v115, v55, v12 :: v_dual_fmac_f32 v8, v53, v6
	ds_load_2addr_b64 v[52:55], v93 offset0:112 offset1:202
	v_fmac_f32_e32 v2, v81, v32
	v_fma_f32 v1, v26, v4, -v1
	v_mul_f32_e32 v4, v81, v33
	ds_load_2addr_b64 v[24:27], v61 offset0:8 offset1:98
	v_mul_f32_e32 v15, v48, v15
	v_fma_f32 v127, v50, v30, -v3
	v_mul_f32_e32 v3, v79, v29
	v_fma_f32 v4, v80, v32, -v4
	s_delay_alu instid0(VALU_DEP_2)
	v_fma_f32 v78, v78, v28, -v3
	s_wait_loadcnt_dscnt 0x500
	v_mul_f32_e32 v32, v26, v37
	v_mul_f32_e32 v125, v50, v31
	;; [unrolled: 1-line block ×4, first 2 shown]
	s_delay_alu instid0(VALU_DEP_4) | instskip(NEXT) | instid1(VALU_DEP_4)
	v_fmac_f32_e32 v32, v27, v36
	v_fmac_f32_e32 v125, v51, v30
	ds_load_2addr_b64 v[28:31], v91 offset0:36 offset1:126
	v_fmac_f32_e32 v15, v49, v14
	v_fma_f32 v12, v24, v34, -v3
	v_fma_f32 v33, v26, v36, -v5
	ds_load_2addr_b64 v[48:51], v89 offset0:60 offset1:150
	s_wait_loadcnt_dscnt 0x301
	v_mul_f32_e32 v6, v29, v47
	v_mul_f32_e32 v13, v28, v47
	s_delay_alu instid0(VALU_DEP_2) | instskip(SKIP_4) | instid1(VALU_DEP_3)
	v_fma_f32 v14, v28, v46, -v6
	s_wait_loadcnt 0x2
	v_mul_f32_e32 v28, v30, v71
	v_mul_f32_e32 v11, v24, v35
	v_fmac_f32_e32 v13, v29, v46
	v_fmac_f32_e32 v28, v31, v70
	s_delay_alu instid0(VALU_DEP_3)
	v_fmac_f32_e32 v11, v25, v34
	ds_load_2addr_b64 v[24:27], v95 offset0:88 offset1:178
	v_mul_f32_e32 v34, v52, v39
	global_wb scope:SCOPE_SE
	s_wait_loadcnt_dscnt 0x0
	s_barrier_signal -1
	s_barrier_wait -1
	global_inv scope:SCOPE_SE
	v_fmac_f32_e32 v34, v53, v38
	v_mul_f32_e32 v6, v26, v75
	v_mul_f32_e32 v3, v53, v39
	;; [unrolled: 1-line block ×3, first 2 shown]
	s_delay_alu instid0(VALU_DEP_3) | instskip(NEXT) | instid1(VALU_DEP_3)
	v_fmac_f32_e32 v6, v27, v74
	v_fma_f32 v35, v52, v38, -v3
	v_dual_mul_f32 v3, v55, v43 :: v_dual_sub_f32 v38, v116, v33
	v_mul_f32_e32 v43, v54, v43
	v_fma_f32 v9, v26, v74, -v9
	v_sub_f32_e32 v74, v22, v126
	s_delay_alu instid0(VALU_DEP_4) | instskip(SKIP_2) | instid1(VALU_DEP_2)
	v_fma_f32 v52, v54, v42, -v3
	v_mul_f32_e32 v3, v51, v45
	v_sub_f32_e32 v54, v119, v34
	v_fma_f32 v7, v50, v44, -v3
	v_mul_f32_e32 v3, v31, v71
	v_sub_f32_e32 v31, v123, v28
	s_delay_alu instid0(VALU_DEP_2) | instskip(SKIP_2) | instid1(VALU_DEP_3)
	v_fma_f32 v29, v30, v70, -v3
	v_dual_sub_f32 v70, v120, v35 :: v_dual_fmac_f32 v43, v55, v42
	v_mul_f32_e32 v3, v25, v73
	v_sub_f32_e32 v30, v18, v29
	v_mul_f32_e32 v5, v49, v41
	s_delay_alu instid0(VALU_DEP_1) | instskip(SKIP_3) | instid1(VALU_DEP_3)
	v_fma_f32 v42, v48, v40, -v5
	v_mul_f32_e32 v5, v50, v45
	v_sub_f32_e32 v45, v115, v32
	v_add_f32_e32 v81, v120, v35
	v_fmac_f32_e32 v5, v51, v44
	v_fma_f32 v44, v24, v72, -v3
	v_add_f32_e32 v3, v115, v32
	s_delay_alu instid0(VALU_DEP_4) | instskip(NEXT) | instid1(VALU_DEP_2)
	v_fma_f32 v81, -0.5, v81, v113
	v_fma_f32 v36, -0.5, v3, v117
	v_sub_f32_e32 v3, v123, v115
	v_dual_mul_f32 v41, v48, v41 :: v_dual_add_f32 v48, v113, v120
	s_delay_alu instid0(VALU_DEP_3) | instskip(NEXT) | instid1(VALU_DEP_2)
	v_fmamk_f32 v26, v30, 0xbf737871, v36
	v_dual_fmac_f32 v36, 0x3f737871, v30 :: v_dual_fmac_f32 v41, v49, v40
	v_mul_f32_e32 v40, v24, v73
	v_add_f32_e32 v24, v116, v33
	s_delay_alu instid0(VALU_DEP_4) | instskip(NEXT) | instid1(VALU_DEP_4)
	v_fmac_f32_e32 v26, 0xbf167918, v38
	v_fmac_f32_e32 v36, 0x3f167918, v38
	s_delay_alu instid0(VALU_DEP_4) | instskip(NEXT) | instid1(VALU_DEP_4)
	v_fmac_f32_e32 v40, v25, v72
	v_fma_f32 v37, -0.5, v24, v118
	v_sub_f32_e32 v24, v28, v32
	v_dual_sub_f32 v25, v18, v116 :: v_dual_sub_f32 v72, v124, v15
	s_delay_alu instid0(VALU_DEP_3) | instskip(NEXT) | instid1(VALU_DEP_3)
	v_fmamk_f32 v39, v31, 0x3f737871, v37
	v_dual_add_f32 v46, v3, v24 :: v_dual_sub_f32 v3, v120, v22
	v_dual_sub_f32 v24, v35, v126 :: v_dual_sub_f32 v27, v29, v33
	s_delay_alu instid0(VALU_DEP_3) | instskip(NEXT) | instid1(VALU_DEP_3)
	v_fmac_f32_e32 v39, 0x3f167918, v45
	v_fmac_f32_e32 v26, 0x3e9e377a, v46
	;; [unrolled: 1-line block ×3, first 2 shown]
	s_delay_alu instid0(VALU_DEP_4) | instskip(SKIP_2) | instid1(VALU_DEP_2)
	v_add_f32_e32 v50, v3, v24
	v_dual_add_f32 v24, v48, v22 :: v_dual_and_b32 v3, 0xffff, v107
	v_fmamk_f32 v107, v72, 0xbf737871, v81
	v_dual_fmac_f32 v81, 0x3f737871, v72 :: v_dual_add_f32 v24, v24, v126
	s_delay_alu instid0(VALU_DEP_1)
	v_dual_fmac_f32 v81, 0xbf167918, v54 :: v_dual_add_f32 v48, v24, v35
	v_add_f32_e32 v24, v124, v15
	v_add_f32_e32 v47, v25, v27
	v_mul_f32_e32 v49, 0x3f167918, v26
	v_sub_f32_e32 v25, v119, v124
	v_sub_f32_e32 v35, v126, v35
	v_fmac_f32_e32 v107, 0x3f167918, v54
	v_fmac_f32_e32 v39, 0x3e9e377a, v47
	v_fma_f32 v55, -0.5, v24, v114
	s_delay_alu instid0(VALU_DEP_2) | instskip(SKIP_2) | instid1(VALU_DEP_4)
	v_fmac_f32_e32 v49, 0x3f4f1bbd, v39
	v_sub_f32_e32 v27, v34, v15
	v_mul_f32_e32 v39, 0xbf167918, v39
	v_fmamk_f32 v73, v70, 0xbf737871, v55
	s_delay_alu instid0(VALU_DEP_3)
	v_add_f32_e32 v51, v25, v27
	v_add_f32_e32 v27, v22, v126
	v_sub_f32_e32 v22, v22, v120
	v_lshlrev_b32_e32 v25, 3, v108
	v_mul_u32_u24_e32 v3, 0x960, v3
	v_add_f32_e32 v108, v119, v34
	s_delay_alu instid0(VALU_DEP_4) | instskip(NEXT) | instid1(VALU_DEP_3)
	v_add_f32_e32 v22, v22, v35
	v_add3_u32 v3, 0, v3, v25
	s_delay_alu instid0(VALU_DEP_2) | instskip(SKIP_4) | instid1(VALU_DEP_2)
	v_fmac_f32_e32 v107, 0x3e9e377a, v22
	v_fmac_f32_e32 v81, 0x3e9e377a, v22
	v_sub_f32_e32 v22, v116, v18
	v_dual_fmac_f32 v39, 0x3f4f1bbd, v26 :: v_dual_add_f32 v26, v114, v119
	v_dual_fmac_f32 v114, -0.5, v108 :: v_dual_fmac_f32 v37, 0xbf737871, v31
	v_add_f32_e32 v25, v26, v124
	v_add_f32_e32 v26, v118, v18
	s_delay_alu instid0(VALU_DEP_3) | instskip(SKIP_1) | instid1(VALU_DEP_4)
	v_fmamk_f32 v108, v74, 0x3f737871, v114
	v_fmac_f32_e32 v114, 0xbf737871, v74
	v_dual_add_f32 v18, v18, v29 :: v_dual_add_f32 v25, v25, v15
	s_delay_alu instid0(VALU_DEP_4) | instskip(NEXT) | instid1(VALU_DEP_3)
	v_dual_add_f32 v24, v26, v116 :: v_dual_sub_f32 v15, v15, v34
	v_fmac_f32_e32 v114, 0x3f167918, v70
	v_fmac_f32_e32 v108, 0xbf167918, v70
	s_delay_alu instid0(VALU_DEP_3) | instskip(SKIP_3) | instid1(VALU_DEP_4)
	v_dual_add_f32 v79, v25, v34 :: v_dual_add_f32 v24, v24, v33
	v_add_f32_e32 v34, v123, v28
	v_fma_f32 v53, -0.5, v27, v113
	v_dual_add_f32 v27, v117, v123 :: v_dual_fmac_f32 v118, -0.5, v18
	v_add_f32_e32 v75, v24, v29
	v_sub_f32_e32 v29, v33, v29
	s_delay_alu instid0(VALU_DEP_4) | instskip(NEXT) | instid1(VALU_DEP_4)
	v_fmamk_f32 v71, v54, 0x3f737871, v53
	v_dual_fmac_f32 v53, 0xbf737871, v54 :: v_dual_add_f32 v26, v27, v115
	v_dual_sub_f32 v18, v115, v123 :: v_dual_fmac_f32 v73, 0xbf167918, v74
	s_delay_alu instid0(VALU_DEP_3) | instskip(NEXT) | instid1(VALU_DEP_3)
	v_dual_fmac_f32 v71, 0x3f167918, v72 :: v_dual_add_f32 v22, v22, v29
	v_fmac_f32_e32 v53, 0xbf167918, v72
	s_delay_alu instid0(VALU_DEP_4) | instskip(SKIP_1) | instid1(VALU_DEP_3)
	v_dual_add_f32 v26, v26, v32 :: v_dual_fmamk_f32 v33, v45, 0xbf737871, v118
	v_fmac_f32_e32 v118, 0x3f737871, v45
	v_dual_add_f32 v24, v48, v75 :: v_dual_fmac_f32 v53, 0x3e9e377a, v50
	s_delay_alu instid0(VALU_DEP_3) | instskip(SKIP_1) | instid1(VALU_DEP_4)
	v_dual_fmac_f32 v37, 0xbf167918, v45 :: v_dual_add_f32 v80, v26, v28
	v_dual_sub_f32 v28, v32, v28 :: v_dual_fmac_f32 v71, 0x3e9e377a, v50
	v_fmac_f32_e32 v118, 0xbf167918, v31
	s_delay_alu instid0(VALU_DEP_3) | instskip(NEXT) | instid1(VALU_DEP_3)
	v_fmac_f32_e32 v37, 0x3e9e377a, v47
	v_dual_fmac_f32 v117, -0.5, v34 :: v_dual_add_f32 v18, v18, v28
	s_delay_alu instid0(VALU_DEP_4) | instskip(NEXT) | instid1(VALU_DEP_4)
	v_dual_fmac_f32 v33, 0x3f167918, v31 :: v_dual_sub_f32 v34, v71, v49
	v_fmac_f32_e32 v118, 0x3e9e377a, v22
	s_delay_alu instid0(VALU_DEP_3) | instskip(SKIP_3) | instid1(VALU_DEP_4)
	v_fmamk_f32 v32, v38, 0x3f737871, v117
	v_fmac_f32_e32 v117, 0xbf737871, v38
	v_add_f32_e32 v25, v79, v80
	v_dual_fmac_f32 v33, 0x3e9e377a, v22 :: v_dual_add_f32 v26, v71, v49
	v_fmac_f32_e32 v32, 0xbf167918, v30
	v_fmac_f32_e32 v73, 0x3e9e377a, v51
	;; [unrolled: 1-line block ×3, first 2 shown]
	s_delay_alu instid0(VALU_DEP_4) | instskip(SKIP_1) | instid1(VALU_DEP_4)
	v_mul_f32_e32 v22, 0xbf737871, v33
	v_add_f32_e32 v50, v19, v14
	v_dual_fmac_f32 v32, 0x3e9e377a, v18 :: v_dual_add_f32 v27, v73, v39
	v_sub_f32_e32 v35, v124, v119
	v_fmac_f32_e32 v117, 0x3e9e377a, v18
	v_mul_f32_e32 v18, 0x3e9e377a, v118
	s_delay_alu instid0(VALU_DEP_4) | instskip(SKIP_4) | instid1(VALU_DEP_3)
	v_fmac_f32_e32 v22, 0x3e9e377a, v32
	ds_store_2addr_b64 v3, v[24:25], v[26:27] offset1:30
	v_dual_mul_f32 v28, 0x3e9e377a, v117 :: v_dual_add_f32 v15, v35, v15
	v_fma_f32 v18, 0x3f737871, v117, -v18
	v_sub_f32_e32 v35, v73, v39
	v_fma_f32 v45, 0xbf737871, v118, -v28
	s_delay_alu instid0(VALU_DEP_4)
	v_fmac_f32_e32 v108, 0x3e9e377a, v15
	v_fmac_f32_e32 v114, 0x3e9e377a, v15
	v_mul_f32_e32 v15, 0x3f737871, v32
	v_mul_f32_e32 v32, 0x3f4f1bbd, v37
	v_sub_f32_e32 v24, v81, v18
	v_add_f32_e32 v31, v108, v22
	v_dual_sub_f32 v39, v108, v22 :: v_dual_sub_f32 v22, v121, v43
	v_fmac_f32_e32 v15, 0x3e9e377a, v33
	v_fma_f32 v46, 0x3f167918, v36, -v32
	v_add_f32_e32 v32, v81, v18
	v_dual_sub_f32 v18, v122, v111 :: v_dual_fmac_f32 v55, 0x3f737871, v70
	s_delay_alu instid0(VALU_DEP_4) | instskip(SKIP_2) | instid1(VALU_DEP_4)
	v_dual_mul_f32 v33, 0x3f4f1bbd, v36 :: v_dual_add_f32 v30, v107, v15
	v_sub_f32_e32 v38, v107, v15
	v_add_f32_e32 v15, v111, v127
	v_fmac_f32_e32 v55, 0x3f167918, v74
	s_delay_alu instid0(VALU_DEP_4) | instskip(SKIP_1) | instid1(VALU_DEP_3)
	v_fma_f32 v47, 0xbf167918, v37, -v33
	v_dual_add_f32 v33, v114, v45 :: v_dual_sub_f32 v28, v48, v75
	v_dual_add_f32 v36, v53, v46 :: v_dual_fmac_f32 v55, 0x3e9e377a, v51
	v_fma_f32 v15, -0.5, v15, v82
	v_sub_f32_e32 v29, v79, v80
	v_dual_sub_f32 v25, v114, v45 :: v_dual_sub_f32 v48, v41, v40
	s_delay_alu instid0(VALU_DEP_4)
	v_add_f32_e32 v37, v55, v47
	ds_store_2addr_b64 v3, v[30:31], v[32:33] offset0:60 offset1:90
	ds_store_2addr_b64 v3, v[36:37], v[28:29] offset0:120 offset1:150
	;; [unrolled: 1-line block ×3, first 2 shown]
	v_dual_sub_f32 v28, v52, v127 :: v_dual_add_f32 v29, v122, v52
	v_sub_f32_e32 v30, v109, v125
	v_fmamk_f32 v36, v22, 0x3f737871, v15
	s_delay_alu instid0(VALU_DEP_3) | instskip(NEXT) | instid1(VALU_DEP_4)
	v_dual_fmac_f32 v15, 0xbf737871, v22 :: v_dual_add_f32 v18, v18, v28
	v_fma_f32 v28, -0.5, v29, v82
	v_dual_add_f32 v29, v82, v122 :: v_dual_sub_f32 v32, v127, v52
	v_sub_f32_e32 v38, v128, v41
	v_fmac_f32_e32 v36, 0x3f167918, v30
	s_delay_alu instid0(VALU_DEP_4) | instskip(NEXT) | instid1(VALU_DEP_4)
	v_fmamk_f32 v45, v30, 0xbf737871, v28
	v_dual_fmac_f32 v28, 0x3f737871, v30 :: v_dual_add_f32 v29, v29, v111
	v_dual_fmac_f32 v15, 0xbf167918, v30 :: v_dual_sub_f32 v34, v110, v40
	s_delay_alu instid0(VALU_DEP_3) | instskip(NEXT) | instid1(VALU_DEP_3)
	v_fmac_f32_e32 v45, 0x3f167918, v22
	v_fmac_f32_e32 v28, 0xbf167918, v22
	s_delay_alu instid0(VALU_DEP_4) | instskip(SKIP_3) | instid1(VALU_DEP_3)
	v_add_f32_e32 v22, v29, v127
	v_add_f32_e32 v29, v109, v125
	v_dual_sub_f32 v26, v53, v46 :: v_dual_sub_f32 v39, v42, v44
	v_dual_fmac_f32 v36, 0x3e9e377a, v18 :: v_dual_add_f32 v33, v121, v43
	v_fma_f32 v46, -0.5, v29, v83
	v_sub_f32_e32 v29, v111, v127
	v_sub_f32_e32 v31, v111, v122
	s_delay_alu instid0(VALU_DEP_1) | instskip(SKIP_1) | instid1(VALU_DEP_2)
	v_dual_sub_f32 v51, v8, v11 :: v_dual_add_f32 v30, v31, v32
	v_sub_f32_e32 v31, v121, v109
	v_dual_sub_f32 v32, v43, v125 :: v_dual_fmac_f32 v45, 0x3e9e377a, v30
	v_fmac_f32_e32 v28, 0x3e9e377a, v30
	v_sub_f32_e32 v30, v122, v52
	s_delay_alu instid0(VALU_DEP_3) | instskip(NEXT) | instid1(VALU_DEP_2)
	v_dual_add_f32 v31, v31, v32 :: v_dual_sub_f32 v32, v109, v121
	v_fmamk_f32 v37, v30, 0xbf737871, v46
	v_fmac_f32_e32 v46, 0x3f737871, v30
	s_delay_alu instid0(VALU_DEP_2) | instskip(NEXT) | instid1(VALU_DEP_2)
	v_fmac_f32_e32 v37, 0xbf167918, v29
	v_fmac_f32_e32 v46, 0x3f167918, v29
	v_dual_fmac_f32 v15, 0x3e9e377a, v18 :: v_dual_add_f32 v18, v22, v52
	v_add_f32_e32 v22, v83, v121
	v_fmac_f32_e32 v83, -0.5, v33
	v_fmac_f32_e32 v37, 0x3e9e377a, v31
	v_dual_fmac_f32 v46, 0x3e9e377a, v31 :: v_dual_sub_f32 v31, v112, v78
	s_delay_alu instid0(VALU_DEP_4) | instskip(NEXT) | instid1(VALU_DEP_1)
	v_dual_add_f32 v22, v22, v109 :: v_dual_sub_f32 v27, v55, v47
	v_add_f32_e32 v22, v22, v125
	s_delay_alu instid0(VALU_DEP_1) | instskip(SKIP_4) | instid1(VALU_DEP_4)
	v_add_f32_e32 v33, v22, v43
	v_sub_f32_e32 v22, v125, v43
	v_fmamk_f32 v43, v29, 0x3f737871, v83
	v_fmac_f32_e32 v83, 0xbf737871, v29
	v_add_f32_e32 v29, v78, v42
	v_add_f32_e32 v22, v32, v22
	s_delay_alu instid0(VALU_DEP_4) | instskip(SKIP_3) | instid1(VALU_DEP_3)
	v_fmac_f32_e32 v43, 0xbf167918, v30
	v_sub_f32_e32 v32, v44, v42
	v_dual_fmac_f32 v83, 0x3f167918, v30 :: v_dual_add_f32 v30, v112, v44
	v_fma_f32 v29, -0.5, v29, v23
	v_add_f32_e32 v31, v31, v32
	s_delay_alu instid0(VALU_DEP_3) | instskip(SKIP_1) | instid1(VALU_DEP_2)
	v_dual_add_f32 v32, v23, v112 :: v_dual_fmac_f32 v23, -0.5, v30
	v_sub_f32_e32 v30, v78, v112
	v_dual_add_f32 v32, v32, v78 :: v_dual_fmamk_f32 v47, v38, 0xbf737871, v23
	s_delay_alu instid0(VALU_DEP_2) | instskip(NEXT) | instid1(VALU_DEP_2)
	v_dual_fmac_f32 v23, 0x3f737871, v38 :: v_dual_add_f32 v30, v30, v39
	v_fmac_f32_e32 v47, 0x3f167918, v34
	s_delay_alu instid0(VALU_DEP_2) | instskip(NEXT) | instid1(VALU_DEP_2)
	v_fmac_f32_e32 v23, 0xbf167918, v34
	v_fmac_f32_e32 v47, 0x3e9e377a, v30
	s_delay_alu instid0(VALU_DEP_2) | instskip(SKIP_1) | instid1(VALU_DEP_2)
	v_dual_fmac_f32 v23, 0x3e9e377a, v30 :: v_dual_add_f32 v30, v128, v41
	v_sub_f32_e32 v39, v110, v128
	v_fma_f32 v30, -0.5, v30, v21
	v_fmamk_f32 v35, v34, 0x3f737871, v29
	v_dual_fmac_f32 v29, 0xbf737871, v34 :: v_dual_add_f32 v34, v110, v40
	s_delay_alu instid0(VALU_DEP_2) | instskip(NEXT) | instid1(VALU_DEP_2)
	v_fmac_f32_e32 v35, 0x3f167918, v38
	v_fmac_f32_e32 v29, 0xbf167918, v38
	v_add_f32_e32 v38, v21, v110
	s_delay_alu instid0(VALU_DEP_1) | instskip(NEXT) | instid1(VALU_DEP_4)
	v_dual_fmac_f32 v21, -0.5, v34 :: v_dual_add_f32 v34, v38, v128
	v_dual_sub_f32 v38, v128, v110 :: v_dual_fmac_f32 v35, 0x3e9e377a, v31
	s_delay_alu instid0(VALU_DEP_4) | instskip(SKIP_1) | instid1(VALU_DEP_4)
	v_fmac_f32_e32 v29, 0x3e9e377a, v31
	v_sub_f32_e32 v31, v78, v42
	v_dual_add_f32 v34, v34, v41 :: v_dual_fmac_f32 v43, 0x3e9e377a, v22
	s_delay_alu instid0(VALU_DEP_4) | instskip(SKIP_1) | instid1(VALU_DEP_4)
	v_dual_add_f32 v38, v38, v48 :: v_dual_fmac_f32 v83, 0x3e9e377a, v22
	v_add_f32_e32 v22, v32, v42
	v_dual_sub_f32 v42, v40, v41 :: v_dual_fmamk_f32 v49, v31, 0x3f737871, v21
	s_delay_alu instid0(VALU_DEP_4) | instskip(NEXT) | instid1(VALU_DEP_3)
	v_dual_fmac_f32 v21, 0xbf737871, v31 :: v_dual_add_f32 v34, v34, v40
	v_add_f32_e32 v32, v22, v44
	s_delay_alu instid0(VALU_DEP_3) | instskip(NEXT) | instid1(VALU_DEP_1)
	v_dual_sub_f32 v22, v112, v44 :: v_dual_add_f32 v39, v39, v42
	v_fmamk_f32 v44, v22, 0xbf737871, v30
	s_delay_alu instid0(VALU_DEP_4) | instskip(SKIP_1) | instid1(VALU_DEP_3)
	v_fmac_f32_e32 v21, 0x3f167918, v22
	v_fmac_f32_e32 v30, 0x3f737871, v22
	v_dual_fmac_f32 v49, 0xbf167918, v22 :: v_dual_fmac_f32 v44, 0xbf167918, v31
	s_delay_alu instid0(VALU_DEP_3) | instskip(NEXT) | instid1(VALU_DEP_2)
	v_fmac_f32_e32 v21, 0x3e9e377a, v38
	v_dual_fmac_f32 v49, 0x3e9e377a, v38 :: v_dual_fmac_f32 v44, 0x3e9e377a, v39
	s_delay_alu instid0(VALU_DEP_2) | instskip(SKIP_1) | instid1(VALU_DEP_3)
	v_mul_f32_e32 v22, 0x3e9e377a, v21
	v_mul_f32_e32 v41, 0xbf167918, v35
	;; [unrolled: 1-line block ×3, first 2 shown]
	s_delay_alu instid0(VALU_DEP_4) | instskip(NEXT) | instid1(VALU_DEP_1)
	v_mul_f32_e32 v40, 0x3f167918, v44
	v_fmac_f32_e32 v40, 0x3f4f1bbd, v35
	v_fmac_f32_e32 v30, 0x3f167918, v31
	v_mul_f32_e32 v31, 0x3e9e377a, v23
	s_delay_alu instid0(VALU_DEP_2) | instskip(NEXT) | instid1(VALU_DEP_2)
	v_fmac_f32_e32 v30, 0x3e9e377a, v39
	v_fma_f32 v31, 0x3f737871, v21, -v31
	s_delay_alu instid0(VALU_DEP_2) | instskip(NEXT) | instid1(VALU_DEP_2)
	v_dual_fmac_f32 v41, 0x3f4f1bbd, v44 :: v_dual_mul_f32 v38, 0x3f4f1bbd, v30
	v_add_f32_e32 v21, v28, v31
	v_dual_sub_f32 v28, v28, v31 :: v_dual_add_f32 v31, v33, v34
	v_dual_sub_f32 v33, v33, v34 :: v_dual_add_f32 v34, v36, v40
	v_mul_f32_e32 v44, 0xbf737871, v47
	v_fmac_f32_e32 v42, 0x3e9e377a, v47
	v_fma_f32 v23, 0xbf737871, v23, -v22
	v_sub_f32_e32 v36, v36, v40
	s_delay_alu instid0(VALU_DEP_4) | instskip(SKIP_3) | instid1(VALU_DEP_4)
	v_fmac_f32_e32 v44, 0x3e9e377a, v49
	v_mul_f32_e32 v35, 0x3f4f1bbd, v29
	v_fma_f32 v48, 0xbf167918, v29, -v38
	v_add_f32_e32 v38, v45, v42
	v_dual_sub_f32 v40, v45, v42 :: v_dual_add_f32 v39, v43, v44
	s_delay_alu instid0(VALU_DEP_4)
	v_fma_f32 v47, 0x3f167918, v30, -v35
	v_add_f32_e32 v30, v18, v32
	v_dual_sub_f32 v32, v18, v32 :: v_dual_add_f32 v35, v37, v41
	v_dual_sub_f32 v37, v37, v41 :: v_dual_add_f32 v18, v10, v12
	v_sub_f32_e32 v41, v43, v44
	v_add_f32_e32 v43, v46, v48
	v_sub_f32_e32 v45, v46, v48
	v_fma_f32 v46, -0.5, v50, v76
	v_add_f32_e32 v22, v83, v23
	v_sub_f32_e32 v48, v10, v19
	v_sub_f32_e32 v50, v12, v14
	v_add_f32_e32 v42, v15, v47
	v_fmamk_f32 v52, v51, 0xbf737871, v46
	v_sub_f32_e32 v29, v83, v23
	v_fma_f32 v23, -0.5, v18, v76
	v_sub_f32_e32 v18, v16, v13
	v_fmac_f32_e32 v46, 0x3f737871, v51
	v_dual_sub_f32 v44, v15, v47 :: v_dual_sub_f32 v47, v14, v12
	s_delay_alu instid0(VALU_DEP_3) | instskip(NEXT) | instid1(VALU_DEP_3)
	v_dual_add_f32 v48, v48, v50 :: v_dual_fmamk_f32 v49, v18, 0x3f737871, v23
	v_fmac_f32_e32 v46, 0xbf167918, v18
	v_sub_f32_e32 v15, v19, v10
	v_fmac_f32_e32 v23, 0xbf737871, v18
	s_delay_alu instid0(VALU_DEP_4) | instskip(NEXT) | instid1(VALU_DEP_3)
	v_dual_fmac_f32 v52, 0x3f167918, v18 :: v_dual_fmac_f32 v49, 0x3f167918, v51
	v_dual_fmac_f32 v46, 0x3e9e377a, v48 :: v_dual_add_f32 v15, v15, v47
	v_add_f32_e32 v47, v76, v19
	s_delay_alu instid0(VALU_DEP_4) | instskip(NEXT) | instid1(VALU_DEP_4)
	v_fmac_f32_e32 v23, 0xbf167918, v51
	v_fmac_f32_e32 v52, 0x3e9e377a, v48
	v_sub_f32_e32 v48, v13, v11
	s_delay_alu instid0(VALU_DEP_4) | instskip(SKIP_3) | instid1(VALU_DEP_4)
	v_dual_sub_f32 v50, v2, v5 :: v_dual_add_f32 v47, v47, v10
	v_dual_sub_f32 v10, v10, v12 :: v_dual_fmac_f32 v49, 0x3e9e377a, v15
	v_fmac_f32_e32 v23, 0x3e9e377a, v15
	v_sub_f32_e32 v51, v7, v9
	v_dual_add_f32 v18, v47, v12 :: v_dual_add_f32 v47, v8, v11
	s_delay_alu instid0(VALU_DEP_1) | instskip(SKIP_2) | instid1(VALU_DEP_4)
	v_dual_add_f32 v12, v16, v13 :: v_dual_add_f32 v15, v18, v14
	v_add_f32_e32 v18, v77, v16
	v_sub_f32_e32 v14, v19, v14
	v_fma_f32 v47, -0.5, v47, v77
	v_sub_f32_e32 v19, v16, v8
	v_fmac_f32_e32 v77, -0.5, v12
	v_add_f32_e32 v18, v18, v8
	v_sub_f32_e32 v8, v8, v16
	v_sub_f32_e32 v16, v0, v6
	s_delay_alu instid0(VALU_DEP_3) | instskip(SKIP_1) | instid1(VALU_DEP_2)
	v_dual_add_f32 v18, v18, v11 :: v_dual_sub_f32 v11, v11, v13
	v_dual_add_f32 v19, v19, v48 :: v_dual_fmamk_f32 v48, v14, 0xbf737871, v47
	v_dual_fmac_f32 v47, 0x3f737871, v14 :: v_dual_add_f32 v12, v18, v13
	s_delay_alu instid0(VALU_DEP_3) | instskip(SKIP_1) | instid1(VALU_DEP_4)
	v_dual_add_f32 v8, v8, v11 :: v_dual_sub_f32 v11, v1, v4
	v_dual_sub_f32 v13, v9, v7 :: v_dual_fmamk_f32 v18, v10, 0x3f737871, v77
	v_fmac_f32_e32 v48, 0xbf167918, v10
	s_delay_alu instid0(VALU_DEP_4) | instskip(NEXT) | instid1(VALU_DEP_3)
	v_fmac_f32_e32 v47, 0x3f167918, v10
	v_add_f32_e32 v11, v11, v13
	s_delay_alu instid0(VALU_DEP_4) | instskip(NEXT) | instid1(VALU_DEP_1)
	v_dual_add_f32 v13, v20, v1 :: v_dual_fmac_f32 v18, 0xbf167918, v14
	v_dual_fmac_f32 v48, 0x3e9e377a, v19 :: v_dual_add_f32 v13, v13, v4
	v_dual_fmac_f32 v77, 0xbf737871, v10 :: v_dual_add_f32 v10, v4, v7
	s_delay_alu instid0(VALU_DEP_3) | instskip(NEXT) | instid1(VALU_DEP_2)
	v_fmac_f32_e32 v18, 0x3e9e377a, v8
	v_dual_fmac_f32 v77, 0x3f167918, v14 :: v_dual_add_f32 v14, v1, v9
	s_delay_alu instid0(VALU_DEP_3) | instskip(NEXT) | instid1(VALU_DEP_2)
	v_fma_f32 v10, -0.5, v10, v20
	v_dual_fmac_f32 v77, 0x3e9e377a, v8 :: v_dual_fmac_f32 v20, -0.5, v14
	v_sub_f32_e32 v14, v4, v1
	v_add_f32_e32 v8, v13, v7
	v_dual_sub_f32 v1, v1, v9 :: v_dual_sub_f32 v4, v4, v7
	s_delay_alu instid0(VALU_DEP_3) | instskip(NEXT) | instid1(VALU_DEP_3)
	v_dual_add_f32 v7, v0, v6 :: v_dual_add_f32 v14, v14, v51
	v_dual_fmac_f32 v47, 0x3e9e377a, v19 :: v_dual_add_f32 v8, v8, v9
	v_add_f32_e32 v9, v2, v5
	v_fmamk_f32 v19, v16, 0x3f737871, v10
	v_fmac_f32_e32 v10, 0xbf737871, v16
	s_delay_alu instid0(VALU_DEP_3) | instskip(SKIP_2) | instid1(VALU_DEP_4)
	v_fma_f32 v9, -0.5, v9, v17
	v_fmamk_f32 v53, v50, 0xbf737871, v20
	v_fmac_f32_e32 v20, 0x3f737871, v50
	v_fmac_f32_e32 v10, 0xbf167918, v50
	s_delay_alu instid0(VALU_DEP_3) | instskip(NEXT) | instid1(VALU_DEP_3)
	v_fmac_f32_e32 v53, 0x3f167918, v16
	v_fmac_f32_e32 v20, 0xbf167918, v16
	s_delay_alu instid0(VALU_DEP_2) | instskip(NEXT) | instid1(VALU_DEP_2)
	v_dual_fmac_f32 v10, 0x3e9e377a, v11 :: v_dual_fmac_f32 v53, 0x3e9e377a, v14
	v_fmac_f32_e32 v20, 0x3e9e377a, v14
	v_dual_sub_f32 v14, v6, v5 :: v_dual_fmac_f32 v19, 0x3f167918, v50
	s_delay_alu instid0(VALU_DEP_1) | instskip(SKIP_2) | instid1(VALU_DEP_3)
	v_fmac_f32_e32 v19, 0x3e9e377a, v11
	v_add_f32_e32 v11, v17, v0
	v_dual_sub_f32 v13, v0, v2 :: v_dual_sub_f32 v0, v2, v0
	v_mul_f32_e32 v50, 0xbf167918, v19
	v_fmac_f32_e32 v17, -0.5, v7
	s_delay_alu instid0(VALU_DEP_4) | instskip(NEXT) | instid1(VALU_DEP_4)
	v_dual_add_f32 v7, v11, v2 :: v_dual_fmamk_f32 v2, v1, 0xbf737871, v9
	v_add_f32_e32 v13, v13, v14
	s_delay_alu instid0(VALU_DEP_2) | instskip(NEXT) | instid1(VALU_DEP_1)
	v_dual_sub_f32 v11, v5, v6 :: v_dual_fmac_f32 v2, 0xbf167918, v4
	v_dual_fmac_f32 v9, 0x3f737871, v1 :: v_dual_add_f32 v0, v0, v11
	s_delay_alu instid0(VALU_DEP_2) | instskip(NEXT) | instid1(VALU_DEP_1)
	v_fmac_f32_e32 v2, 0x3e9e377a, v13
	v_fmac_f32_e32 v50, 0x3f4f1bbd, v2
	v_fmamk_f32 v16, v4, 0x3f737871, v17
	v_fmac_f32_e32 v17, 0xbf737871, v4
	v_mul_f32_e32 v14, 0x3f167918, v2
	s_delay_alu instid0(VALU_DEP_3) | instskip(NEXT) | instid1(VALU_DEP_3)
	v_fmac_f32_e32 v16, 0xbf167918, v1
	v_fmac_f32_e32 v17, 0x3f167918, v1
	s_delay_alu instid0(VALU_DEP_3)
	v_fmac_f32_e32 v14, 0x3f4f1bbd, v19
	v_fmac_f32_e32 v9, 0x3f167918, v4
	v_mul_f32_e32 v1, 0x3e9e377a, v20
	v_fmac_f32_e32 v16, 0x3e9e377a, v0
	v_fmac_f32_e32 v17, 0x3e9e377a, v0
	v_mul_f32_e32 v2, 0xbf737871, v53
	v_mul_f32_e32 v4, 0x3f4f1bbd, v10
	v_and_b32_e32 v19, 0xffff, v103
	v_mul_f32_e32 v51, 0x3f737871, v16
	v_mul_f32_e32 v0, 0x3e9e377a, v17
	v_dual_add_f32 v5, v7, v5 :: v_dual_fmac_f32 v2, 0x3e9e377a, v16
	v_fmac_f32_e32 v9, 0x3e9e377a, v13
	v_fma_f32 v1, 0x3f737871, v17, -v1
	s_delay_alu instid0(VALU_DEP_4) | instskip(NEXT) | instid1(VALU_DEP_4)
	v_fma_f32 v0, 0xbf737871, v20, -v0
	v_add_f32_e32 v11, v5, v6
	v_sub_f32_e32 v13, v48, v50
	v_fma_f32 v20, 0x3f167918, v9, -v4
	v_mul_f32_e32 v5, 0x3f4f1bbd, v9
	v_add_f32_e32 v4, v46, v1
	v_dual_sub_f32 v6, v46, v1 :: v_dual_add_f32 v1, v12, v11
	v_sub_f32_e32 v9, v12, v11
	v_add_f32_e32 v11, v48, v50
	v_dual_sub_f32 v12, v49, v14 :: v_dual_fmac_f32 v51, 0x3e9e377a, v53
	v_lshlrev_b32_e32 v48, 3, v106
	v_mul_u32_u24_e32 v46, 0x960, v19
	v_fma_f32 v53, 0xbf167918, v10, -v5
	v_add_f32_e32 v5, v77, v0
	v_sub_f32_e32 v7, v77, v0
	v_add_f32_e32 v0, v15, v8
	v_dual_sub_f32 v8, v15, v8 :: v_dual_add_f32 v15, v18, v2
	v_dual_sub_f32 v17, v18, v2 :: v_dual_add_f32 v18, v23, v20
	v_sub_f32_e32 v2, v23, v20
	v_add_nc_u32_e32 v20, 0x400, v3
	v_add3_u32 v23, 0, v46, v48
	v_mul_u32_u24_e32 v46, 0x960, v104
	v_lshlrev_b32_e32 v48, 3, v105
	ds_store_2addr_b64 v20, v[24:25], v[26:27] offset0:112 offset1:142
	ds_store_2addr_b64 v23, v[30:31], v[34:35] offset1:30
	v_add_nc_u32_e32 v20, 0x400, v23
	v_add_f32_e32 v10, v49, v14
	v_add3_u32 v24, 0, v46, v48
	v_add_f32_e32 v14, v52, v51
	ds_store_2addr_b64 v23, v[38:39], v[21:22] offset0:60 offset1:90
	ds_store_2addr_b64 v23, v[42:43], v[32:33] offset0:120 offset1:150
	;; [unrolled: 1-line block ×4, first 2 shown]
	ds_store_2addr_b64 v24, v[0:1], v[10:11] offset1:30
	v_dual_mov_b32 v1, 0 :: v_dual_lshlrev_b32 v0, 1, v56
	v_dual_add_f32 v19, v47, v53 :: v_dual_sub_f32 v16, v52, v51
	ds_store_2addr_b64 v24, v[14:15], v[4:5] offset0:60 offset1:90
	ds_store_2addr_b64 v24, v[18:19], v[8:9] offset0:120 offset1:150
	ds_store_2addr_b64 v24, v[12:13], v[16:17] offset0:180 offset1:210
	v_add_nc_u32_e32 v16, 0x78, v0
	v_lshlrev_b64_e32 v[4:5], 3, v[0:1]
	v_add_nc_u32_e32 v10, 0x400, v24
	v_lshrrev_b16 v14, 2, v65
	v_sub_f32_e32 v3, v47, v53
	v_subrev_nc_u32_e32 v8, 30, v56
	v_lshrrev_b16 v18, 2, v64
	v_add_nc_u32_e32 v0, 0x12c, v0
	v_and_b32_e32 v14, 0xffff, v14
	ds_store_2addr_b64 v10, v[6:7], v[2:3] offset0:112 offset1:142
	v_add_co_u32 v2, s0, s4, v4
	s_wait_alu 0xf1ff
	v_add_co_ci_u32_e64 v3, s0, s5, v5, s0
	v_cmp_gt_u32_e64 s0, 30, v56
	v_dual_mov_b32 v7, v1 :: v_dual_lshlrev_b32 v6, 1, v60
	v_dual_mov_b32 v13, v1 :: v_dual_and_b32 v18, 0xffff, v18
	s_wait_alu 0xf1ff
	s_delay_alu instid0(VALU_DEP_3)
	v_cndmask_b32_e64 v15, v8, v68, s0
	v_mov_b32_e32 v17, v1
	v_lshlrev_b64_e32 v[4:5], 3, v[6:7]
	v_lshlrev_b32_e32 v6, 1, v69
	v_mul_u32_u24_e32 v14, 0x6d3b, v14
	v_lshlrev_b32_e32 v12, 1, v15
	global_wb scope:SCOPE_SE
	s_wait_dscnt 0x0
	s_barrier_signal -1
	v_lshlrev_b64_e32 v[6:7], 3, v[6:7]
	v_add_co_u32 v4, s0, s4, v4
	s_wait_alu 0xf1ff
	v_add_co_ci_u32_e64 v5, s0, s5, v5, s0
	v_lshlrev_b64_e32 v[12:13], 3, v[12:13]
	s_delay_alu instid0(VALU_DEP_4)
	v_add_co_u32 v6, s0, s4, v6
	s_barrier_wait -1
	global_inv scope:SCOPE_SE
	s_clause 0x1
	global_load_b128 v[8:11], v[2:3], off offset:2376
	global_load_b128 v[19:22], v[4:5], off offset:2376
	s_wait_alu 0xf1ff
	v_add_co_ci_u32_e64 v7, s0, s5, v7, s0
	v_add_co_u32 v12, s0, s4, v12
	v_lshlrev_b64_e32 v[16:17], 3, v[16:17]
	s_wait_alu 0xf1ff
	v_add_co_ci_u32_e64 v13, s0, s5, v13, s0
	v_lshrrev_b32_e32 v14, 21, v14
	global_load_b128 v[23:26], v[6:7], off offset:2376
	v_mul_u32_u24_e32 v18, 0x6d3b, v18
	global_load_b128 v[27:30], v[12:13], off offset:2376
	v_add_co_u32 v12, s0, s4, v16
	v_mul_lo_u16 v35, 0x12c, v14
	v_lshrrev_b16 v36, 2, v63
	s_wait_alu 0xf1ff
	v_add_co_ci_u32_e64 v13, s0, s5, v17, s0
	v_lshlrev_b64_e32 v[16:17], 3, v[0:1]
	v_lshrrev_b32_e32 v0, 21, v18
	v_sub_nc_u16 v18, v65, v35
	v_and_b32_e32 v35, 0xffff, v36
	global_load_b128 v[31:34], v[12:13], off offset:2376
	v_lshrrev_b16 v36, 2, v62
	v_add_co_u32 v12, s0, s4, v16
	s_wait_alu 0xf1ff
	v_add_co_ci_u32_e64 v13, s0, s5, v17, s0
	v_mul_lo_u16 v0, 0x12c, v0
	v_mul_u32_u24_e32 v16, 0x6d3b, v35
	v_and_b32_e32 v17, 0xffff, v36
	global_load_b128 v[35:38], v[12:13], off offset:2376
	v_and_b32_e32 v18, 0xffff, v18
	v_sub_nc_u16 v0, v64, v0
	v_lshrrev_b32_e32 v12, 21, v16
	v_mul_u32_u24_e32 v16, 0x6d3b, v17
	v_cmp_lt_u32_e64 s0, 29, v56
	v_lshlrev_b32_e32 v13, 4, v18
	v_and_b32_e32 v17, 0xffff, v0
	v_mul_lo_u16 v0, 0x12c, v12
	v_lshrrev_b32_e32 v12, 21, v16
	v_mul_u32_u24_e32 v14, 0x1c20, v14
	global_load_b128 v[39:42], v13, s[4:5] offset:2376
	v_lshlrev_b32_e32 v18, 3, v18
	v_sub_nc_u16 v0, v63, v0
	v_mul_lo_u16 v12, 0x12c, v12
	s_delay_alu instid0(VALU_DEP_3) | instskip(NEXT) | instid1(VALU_DEP_3)
	v_add3_u32 v14, 0, v14, v18
	v_and_b32_e32 v16, 0xffff, v0
	s_delay_alu instid0(VALU_DEP_3) | instskip(NEXT) | instid1(VALU_DEP_2)
	v_sub_nc_u16 v0, v62, v12
	v_lshlrev_b32_e32 v12, 4, v16
	s_delay_alu instid0(VALU_DEP_2)
	v_and_b32_e32 v0, 0xffff, v0
	global_load_b128 v[47:50], v12, s[4:5] offset:2376
	v_lshlrev_b32_e32 v13, 4, v17
	v_lshlrev_b32_e32 v12, 4, v0
	s_clause 0x1
	global_load_b128 v[43:46], v13, s[4:5] offset:2376
	global_load_b128 v[51:54], v12, s[4:5] offset:2376
	ds_load_2addr_b64 v[70:73], v102 offset0:132 offset1:222
	ds_load_2addr_b64 v[74:77], v61 offset0:8 offset1:98
	;; [unrolled: 1-line block ×4, first 2 shown]
	s_wait_loadcnt_dscnt 0x903
	v_mul_f32_e32 v12, v9, v71
	v_mul_f32_e32 v55, v9, v70
	s_wait_dscnt 0x2
	v_mul_f32_e32 v9, v11, v75
	s_wait_loadcnt 0x8
	v_dual_mul_f32 v82, v11, v74 :: v_dual_mul_f32 v11, v73, v20
	v_fma_f32 v83, v8, v70, -v12
	v_dual_mul_f32 v12, v77, v22 :: v_dual_fmac_f32 v55, v8, v71
	v_fma_f32 v74, v10, v74, -v9
	s_delay_alu instid0(VALU_DEP_4)
	v_dual_fmac_f32 v82, v10, v75 :: v_dual_mul_f32 v107, v76, v22
	s_wait_loadcnt_dscnt 0x701
	v_mul_f32_e32 v108, v78, v24
	v_fma_f32 v76, v76, v21, -v12
	s_wait_dscnt 0x0
	v_mul_f32_e32 v12, v103, v26
	v_fma_f32 v75, v72, v19, -v11
	ds_load_2addr_b64 v[8:11], v92 offset0:108 offset1:198
	v_mul_f32_e32 v106, v72, v20
	v_mul_f32_e32 v13, v79, v24
	v_dual_fmac_f32 v107, v77, v21 :: v_dual_fmac_f32 v108, v79, v23
	s_wait_loadcnt 0x6
	s_delay_alu instid0(VALU_DEP_3)
	v_dual_mul_f32 v79, v80, v28 :: v_dual_fmac_f32 v106, v73, v19
	ds_load_2addr_b64 v[70:73], v93 offset0:112 offset1:202
	v_fma_f32 v77, v78, v23, -v13
	v_mul_f32_e32 v78, v102, v26
	v_fma_f32 v102, v102, v25, -v12
	v_mul_f32_e32 v12, v105, v30
	ds_load_2addr_b64 v[19:22], v90 offset0:160 offset1:250
	v_dual_mul_f32 v13, v81, v28 :: v_dual_fmac_f32 v78, v103, v25
	v_mul_f32_e32 v103, v104, v30
	v_fmac_f32_e32 v79, v81, v27
	v_fma_f32 v81, v104, v29, -v12
	ds_load_2addr_b64 v[23:26], v91 offset0:36 offset1:126
	v_fma_f32 v80, v80, v27, -v13
	s_wait_loadcnt_dscnt 0x503
	v_mul_f32_e32 v104, v8, v32
	v_mul_f32_e32 v12, v9, v32
	s_wait_loadcnt 0x4
	v_dual_fmac_f32 v103, v105, v29 :: v_dual_mul_f32 v110, v10, v36
	ds_load_2addr_b64 v[27:30], v95 offset0:88 offset1:178
	v_fmac_f32_e32 v104, v9, v31
	v_fma_f32 v109, v8, v31, -v12
	v_mul_f32_e32 v8, v11, v36
	s_wait_dscnt 0x3
	v_mul_f32_e32 v13, v71, v34
	v_dual_mul_f32 v105, v70, v34 :: v_dual_fmac_f32 v110, v11, v35
	v_mul_f32_e32 v12, v73, v38
	v_fma_f32 v111, v10, v35, -v8
	ds_load_2addr_b64 v[8:11], v94 offset0:84 offset1:174
	v_fma_f32 v70, v70, v33, -v13
	s_wait_loadcnt_dscnt 0x303
	v_mul_f32_e32 v13, v20, v40
	v_fmac_f32_e32 v105, v71, v33
	v_dual_mul_f32 v71, v72, v38 :: v_dual_mul_f32 v112, v19, v40
	v_fma_f32 v72, v72, v37, -v12
	s_wait_dscnt 0x2
	v_mul_f32_e32 v12, v24, v42
	s_delay_alu instid0(VALU_DEP_3)
	v_dual_mul_f32 v42, v23, v42 :: v_dual_fmac_f32 v71, v73, v37
	v_fma_f32 v73, v19, v39, -v13
	v_fmac_f32_e32 v112, v20, v39
	ds_load_b64 v[19:20], v84
	v_fma_f32 v113, v23, v41, -v12
	v_fmac_f32_e32 v42, v24, v41
	v_add_f32_e32 v40, v55, v82
	v_add_f32_e32 v39, v83, v74
	s_wait_loadcnt 0x1
	v_dual_mul_f32 v12, v22, v44 :: v_dual_lshlrev_b32 v15, 3, v15
	v_mul_f32_e32 v41, v25, v46
	v_dual_mul_f32 v44, v21, v44 :: v_dual_mul_f32 v13, v26, v46
	v_lshl_add_u32 v17, v17, 3, 0
	s_delay_alu instid0(VALU_DEP_4)
	v_fma_f32 v46, v21, v43, -v12
	s_wait_dscnt 0x1
	v_mul_f32_e32 v12, v9, v48
	v_fmac_f32_e32 v44, v22, v43
	v_fma_f32 v43, v25, v45, -v13
	v_dual_mul_f32 v48, v8, v48 :: v_dual_fmac_f32 v41, v26, v45
	v_mul_f32_e32 v13, v28, v50
	v_mul_f32_e32 v45, v27, v50
	ds_load_b64 v[21:22], v87
	ds_load_b64 v[23:24], v100
	;; [unrolled: 1-line block ×3, first 2 shown]
	s_wait_loadcnt 0x0
	v_dual_fmac_f32 v48, v9, v47 :: v_dual_mul_f32 v9, v30, v54
	v_fma_f32 v50, v8, v47, -v12
	v_mul_f32_e32 v8, v11, v52
	v_fma_f32 v47, v27, v49, -v13
	v_fmac_f32_e32 v45, v28, v49
	v_mul_f32_e32 v49, v10, v52
	v_lshl_add_u32 v13, v67, 3, 0
	v_fma_f32 v52, v10, v51, -v8
	s_wait_dscnt 0x3
	v_add_f32_e32 v8, v19, v83
	v_lshl_add_u32 v12, v66, 3, 0
	v_fmac_f32_e32 v49, v11, v51
	v_fma_f32 v51, v29, v53, -v9
	v_dual_add_f32 v9, v20, v55 :: v_dual_fmac_f32 v20, -0.5, v40
	v_fma_f32 v19, -0.5, v39, v19
	v_mul_f32_e32 v54, v29, v54
	v_lshl_add_u32 v11, v64, 3, 0
	s_delay_alu instid0(VALU_DEP_4) | instskip(SKIP_1) | instid1(VALU_DEP_4)
	v_add_f32_e32 v28, v9, v82
	v_lshl_add_u32 v10, v63, 3, 0
	v_dual_fmac_f32 v54, v30, v53 :: v_dual_sub_f32 v53, v55, v82
	v_sub_f32_e32 v55, v83, v74
	s_wait_dscnt 0x0
	v_add_f32_e32 v82, v26, v106
	s_delay_alu instid0(VALU_DEP_2)
	v_fmamk_f32 v40, v55, 0xbf5db3d7, v20
	v_dual_fmac_f32 v20, 0x3f5db3d7, v55 :: v_dual_fmamk_f32 v39, v53, 0x3f5db3d7, v19
	v_fmac_f32_e32 v19, 0xbf5db3d7, v53
	v_add_f32_e32 v53, v75, v76
	v_add_f32_e32 v55, v106, v107
	v_dual_add_f32 v27, v8, v74 :: v_dual_add_f32 v74, v25, v75
	ds_load_b64 v[29:30], v13
	ds_load_b64 v[31:32], v12
	;; [unrolled: 1-line block ×4, first 2 shown]
	v_fma_f32 v25, -0.5, v53, v25
	v_sub_f32_e32 v53, v106, v107
	v_dual_fmac_f32 v26, -0.5, v55 :: v_dual_sub_f32 v55, v75, v76
	ds_load_b64 v[35:36], v99
	ds_load_b64 v[37:38], v98
	global_wb scope:SCOPE_SE
	s_wait_dscnt 0x0
	s_barrier_signal -1
	s_barrier_wait -1
	global_inv scope:SCOPE_SE
	ds_store_b64 v84, v[27:28]
	ds_store_b64 v84, v[39:40] offset:2400
	ds_store_b64 v84, v[19:20] offset:4800
	v_add_f32_e32 v19, v74, v76
	v_dual_add_f32 v20, v82, v107 :: v_dual_fmamk_f32 v27, v53, 0x3f5db3d7, v25
	v_dual_fmamk_f32 v28, v55, 0xbf5db3d7, v26 :: v_dual_fmac_f32 v25, 0xbf5db3d7, v53
	v_dual_add_f32 v39, v77, v102 :: v_dual_add_f32 v40, v23, v77
	v_dual_add_f32 v53, v24, v108 :: v_dual_fmac_f32 v26, 0x3f5db3d7, v55
	v_add_f32_e32 v55, v108, v78
	s_delay_alu instid0(VALU_DEP_3)
	v_fma_f32 v23, -0.5, v39, v23
	ds_store_b64 v101, v[19:20]
	ds_store_b64 v101, v[27:28] offset:2400
	ds_store_b64 v101, v[25:26] offset:4800
	v_dual_add_f32 v26, v21, v80 :: v_dual_add_f32 v39, v40, v102
	v_fmac_f32_e32 v24, -0.5, v55
	v_dual_add_f32 v40, v53, v78 :: v_dual_add_f32 v25, v80, v81
	v_dual_sub_f32 v55, v77, v102 :: v_dual_add_f32 v28, v79, v103
	v_sub_f32_e32 v53, v108, v78
	v_add_f32_e32 v27, v22, v79
	s_delay_alu instid0(VALU_DEP_4) | instskip(NEXT) | instid1(VALU_DEP_4)
	v_fma_f32 v21, -0.5, v25, v21
	v_fmamk_f32 v20, v55, 0xbf5db3d7, v24
	s_delay_alu instid0(VALU_DEP_4)
	v_dual_fmac_f32 v22, -0.5, v28 :: v_dual_fmamk_f32 v19, v53, 0x3f5db3d7, v23
	v_fmac_f32_e32 v24, 0x3f5db3d7, v55
	v_fmac_f32_e32 v23, 0xbf5db3d7, v53
	s_wait_alu 0xf1ff
	v_cndmask_b32_e64 v53, 0, 0x1c20, s0
	v_sub_f32_e32 v28, v80, v81
	v_dual_add_f32 v25, v26, v81 :: v_dual_add_f32 v26, v27, v103
	v_sub_f32_e32 v27, v79, v103
	s_delay_alu instid0(VALU_DEP_4)
	v_add3_u32 v53, 0, v53, v15
	ds_store_b64 v100, v[39:40]
	ds_store_b64 v100, v[19:20] offset:2400
	ds_store_b64 v100, v[23:24] offset:4800
	v_fmamk_f32 v20, v28, 0xbf5db3d7, v22
	v_dual_fmac_f32 v22, 0x3f5db3d7, v28 :: v_dual_fmamk_f32 v19, v27, 0x3f5db3d7, v21
	v_dual_add_f32 v24, v30, v104 :: v_dual_fmac_f32 v21, 0xbf5db3d7, v27
	v_dual_add_f32 v28, v32, v110 :: v_dual_add_f32 v15, v29, v109
	s_delay_alu instid0(VALU_DEP_2) | instskip(NEXT) | instid1(VALU_DEP_2)
	v_dual_add_f32 v27, v31, v111 :: v_dual_add_f32 v24, v24, v105
	v_dual_add_f32 v39, v109, v70 :: v_dual_add_f32 v28, v28, v71
	s_delay_alu instid0(VALU_DEP_3) | instskip(NEXT) | instid1(VALU_DEP_3)
	v_dual_add_f32 v23, v15, v70 :: v_dual_add_f32 v40, v104, v105
	v_add_f32_e32 v27, v27, v72
	v_add_nc_u32_e32 v15, 0x1c00, v84
	ds_store_b64 v53, v[25:26]
	ds_store_b64 v53, v[19:20] offset:2400
	ds_store_b64 v53, v[21:22] offset:4800
	ds_store_2addr_b64 v15, v[23:24], v[27:28] offset0:64 offset1:154
	v_add_f32_e32 v20, v111, v72
	v_add_f32_e32 v22, v110, v71
	v_fma_f32 v29, -0.5, v39, v29
	v_dual_sub_f32 v39, v104, v105 :: v_dual_fmac_f32 v30, -0.5, v40
	v_dual_sub_f32 v21, v109, v70 :: v_dual_sub_f32 v24, v111, v72
	v_fma_f32 v31, -0.5, v20, v31
	v_dual_fmac_f32 v32, -0.5, v22 :: v_dual_sub_f32 v23, v110, v71
	s_delay_alu instid0(VALU_DEP_4) | instskip(NEXT) | instid1(VALU_DEP_4)
	v_fmamk_f32 v19, v39, 0x3f5db3d7, v29
	v_dual_fmac_f32 v29, 0xbf5db3d7, v39 :: v_dual_fmamk_f32 v20, v21, 0xbf5db3d7, v30
	v_fmac_f32_e32 v30, 0x3f5db3d7, v21
	s_delay_alu instid0(VALU_DEP_4)
	v_fmamk_f32 v22, v24, 0xbf5db3d7, v32
	v_dual_fmamk_f32 v21, v23, 0x3f5db3d7, v31 :: v_dual_fmac_f32 v32, 0x3f5db3d7, v24
	v_dual_fmac_f32 v31, 0xbf5db3d7, v23 :: v_dual_add_f32 v24, v36, v112
	v_add_f32_e32 v23, v73, v113
	v_dual_add_f32 v25, v112, v42 :: v_dual_add_f32 v26, v35, v73
	v_sub_f32_e32 v27, v112, v42
	s_delay_alu instid0(VALU_DEP_4) | instskip(NEXT) | instid1(VALU_DEP_4)
	v_add_f32_e32 v24, v24, v42
	v_fma_f32 v35, -0.5, v23, v35
	s_delay_alu instid0(VALU_DEP_4) | instskip(SKIP_2) | instid1(VALU_DEP_4)
	v_fmac_f32_e32 v36, -0.5, v25
	v_sub_f32_e32 v28, v73, v113
	v_dual_add_f32 v39, v44, v41 :: v_dual_add_f32 v40, v33, v46
	v_fmamk_f32 v25, v27, 0x3f5db3d7, v35
	s_delay_alu instid0(VALU_DEP_3)
	v_dual_add_f32 v23, v26, v113 :: v_dual_fmamk_f32 v26, v28, 0xbf5db3d7, v36
	v_fmac_f32_e32 v35, 0xbf5db3d7, v27
	v_dual_add_f32 v27, v46, v43 :: v_dual_fmac_f32 v36, 0x3f5db3d7, v28
	v_add_f32_e32 v28, v34, v44
	v_sub_f32_e32 v42, v44, v41
	v_add_f32_e32 v44, v8, v50
	s_delay_alu instid0(VALU_DEP_4)
	v_fma_f32 v33, -0.5, v27, v33
	ds_store_2addr_b64 v92, v[19:20], v[21:22] offset0:108 offset1:198
	ds_store_2addr_b64 v94, v[29:30], v[31:32] offset0:24 offset1:114
	v_dual_add_f32 v28, v28, v41 :: v_dual_sub_f32 v41, v46, v43
	v_dual_fmac_f32 v34, -0.5, v39 :: v_dual_fmamk_f32 v39, v42, 0x3f5db3d7, v33
	v_fmac_f32_e32 v33, 0xbf5db3d7, v42
	v_add_f32_e32 v27, v40, v43
	v_add_f32_e32 v42, v50, v47
	s_delay_alu instid0(VALU_DEP_4) | instskip(SKIP_4) | instid1(VALU_DEP_3)
	v_fmamk_f32 v40, v41, 0xbf5db3d7, v34
	v_sub_f32_e32 v46, v48, v45
	v_add_f32_e32 v43, v48, v45
	v_dual_fmac_f32 v34, 0x3f5db3d7, v41 :: v_dual_add_f32 v41, v9, v48
	v_fma_f32 v8, -0.5, v42, v8
	v_dual_sub_f32 v48, v49, v54 :: v_dual_fmac_f32 v9, -0.5, v43
	ds_store_b64 v14, v[23:24]
	ds_store_b64 v14, v[25:26] offset:2400
	ds_store_b64 v14, v[35:36] offset:4800
	v_dual_add_f32 v42, v41, v45 :: v_dual_sub_f32 v45, v50, v47
	v_add_f32_e32 v41, v44, v47
	v_add_f32_e32 v47, v49, v54
	v_fmamk_f32 v43, v46, 0x3f5db3d7, v8
	v_fmac_f32_e32 v8, 0xbf5db3d7, v46
	v_add_f32_e32 v46, v52, v51
	v_fmamk_f32 v44, v45, 0xbf5db3d7, v9
	v_fmac_f32_e32 v9, 0x3f5db3d7, v45
	v_add_f32_e32 v45, v37, v52
	v_lshl_add_u32 v14, v16, 3, 0
	v_fma_f32 v37, -0.5, v46, v37
	v_add_f32_e32 v46, v38, v49
	v_fmac_f32_e32 v38, -0.5, v47
	v_add_f32_e32 v45, v45, v51
	v_sub_f32_e32 v49, v52, v51
	v_lshl_add_u32 v16, v0, 3, 0
	v_lshlrev_b32_e32 v0, 1, v68
	v_dual_add_f32 v46, v46, v54 :: v_dual_fmamk_f32 v47, v48, 0x3f5db3d7, v37
	s_delay_alu instid0(VALU_DEP_4)
	v_dual_fmac_f32 v37, 0xbf5db3d7, v48 :: v_dual_fmamk_f32 v48, v49, 0xbf5db3d7, v38
	v_fmac_f32_e32 v38, 0x3f5db3d7, v49
	ds_store_b64 v17, v[27:28] offset:14400
	ds_store_b64 v17, v[39:40] offset:16800
	;; [unrolled: 1-line block ×9, first 2 shown]
	v_lshlrev_b64_e32 v[8:9], 3, v[0:1]
	global_wb scope:SCOPE_SE
	s_wait_dscnt 0x0
	s_barrier_signal -1
	s_barrier_wait -1
	global_inv scope:SCOPE_SE
	v_add_co_u32 v16, s0, s4, v8
	s_wait_alu 0xf1ff
	v_add_co_ci_u32_e64 v17, s0, s5, v9, s0
	s_clause 0x1
	global_load_b128 v[6:9], v[6:7], off offset:7176
	global_load_b128 v[16:19], v[16:17], off offset:7176
	v_lshlrev_b32_e32 v0, 1, v67
	s_delay_alu instid0(VALU_DEP_1) | instskip(SKIP_1) | instid1(VALU_DEP_1)
	v_lshlrev_b64_e32 v[20:21], 3, v[0:1]
	v_lshlrev_b32_e32 v0, 1, v66
	v_lshlrev_b64_e32 v[22:23], 3, v[0:1]
	s_delay_alu instid0(VALU_DEP_3) | instskip(SKIP_1) | instid1(VALU_DEP_4)
	v_add_co_u32 v20, s0, s4, v20
	s_wait_alu 0xf1ff
	v_add_co_ci_u32_e64 v21, s0, s5, v21, s0
	s_delay_alu instid0(VALU_DEP_3)
	v_add_co_u32 v24, s0, s4, v22
	s_wait_alu 0xf1ff
	v_add_co_ci_u32_e64 v25, s0, s5, v23, s0
	s_clause 0x1
	global_load_b128 v[20:23], v[20:21], off offset:7176
	global_load_b128 v[24:27], v[24:25], off offset:7176
	v_lshlrev_b32_e32 v0, 1, v65
	s_delay_alu instid0(VALU_DEP_1) | instskip(SKIP_1) | instid1(VALU_DEP_1)
	v_lshlrev_b64_e32 v[28:29], 3, v[0:1]
	v_lshlrev_b32_e32 v0, 1, v64
	v_lshlrev_b64_e32 v[32:33], 3, v[0:1]
	s_delay_alu instid0(VALU_DEP_3) | instskip(SKIP_1) | instid1(VALU_DEP_4)
	v_add_co_u32 v28, s0, s4, v28
	s_wait_alu 0xf1ff
	v_add_co_ci_u32_e64 v29, s0, s5, v29, s0
	s_delay_alu instid0(VALU_DEP_3)
	v_add_co_u32 v32, s0, s4, v32
	s_wait_alu 0xf1ff
	v_add_co_ci_u32_e64 v33, s0, s5, v33, s0
	s_clause 0x1
	global_load_b128 v[28:31], v[28:29], off offset:7176
	global_load_b128 v[32:35], v[32:33], off offset:7176
	v_lshlrev_b32_e32 v0, 1, v63
	s_delay_alu instid0(VALU_DEP_1) | instskip(SKIP_1) | instid1(VALU_DEP_2)
	v_lshlrev_b64_e32 v[36:37], 3, v[0:1]
	v_lshlrev_b32_e32 v0, 1, v62
	v_add_co_u32 v36, s0, s4, v36
	s_delay_alu instid0(VALU_DEP_2) | instskip(SKIP_1) | instid1(VALU_DEP_4)
	v_lshlrev_b64_e32 v[40:41], 3, v[0:1]
	s_wait_alu 0xf1ff
	v_add_co_ci_u32_e64 v37, s0, s5, v37, s0
	global_load_b128 v[36:39], v[36:37], off offset:7176
	v_add_co_u32 v40, s0, s4, v40
	s_wait_alu 0xf1ff
	v_add_co_ci_u32_e64 v41, s0, s5, v41, s0
	s_clause 0x2
	global_load_b128 v[40:43], v[40:41], off offset:7176
	global_load_b128 v[44:47], v[2:3], off offset:7176
	;; [unrolled: 1-line block ×3, first 2 shown]
	ds_load_2addr_b64 v[48:51], v88 offset0:56 offset1:146
	ds_load_2addr_b64 v[52:55], v89 offset0:60 offset1:150
	;; [unrolled: 1-line block ×4, first 2 shown]
	s_wait_loadcnt_dscnt 0x903
	v_mul_f32_e32 v0, v49, v7
	s_wait_dscnt 0x2
	v_dual_mul_f32 v78, v48, v7 :: v_dual_mul_f32 v7, v53, v9
	v_mul_f32_e32 v79, v52, v9
	s_wait_loadcnt 0x8
	v_mul_f32_e32 v80, v50, v17
	v_fma_f32 v0, v48, v6, -v0
	v_fmac_f32_e32 v78, v49, v6
	v_mul_f32_e32 v6, v51, v17
	v_fma_f32 v52, v52, v8, -v7
	v_dual_fmac_f32 v79, v53, v8 :: v_dual_mul_f32 v14, v55, v19
	v_fmac_f32_e32 v80, v51, v16
	s_delay_alu instid0(VALU_DEP_4) | instskip(SKIP_4) | instid1(VALU_DEP_2)
	v_fma_f32 v81, v50, v16, -v6
	ds_load_2addr_b64 v[6:9], v90 offset0:160 offset1:250
	ds_load_2addr_b64 v[48:51], v91 offset0:36 offset1:126
	v_mul_f32_e32 v53, v54, v19
	v_fma_f32 v54, v54, v18, -v14
	v_fmac_f32_e32 v53, v55, v18
	s_wait_loadcnt_dscnt 0x703
	v_mul_f32_e32 v14, v71, v21
	v_mul_f32_e32 v82, v70, v21
	s_wait_dscnt 0x2
	v_mul_f32_e32 v16, v75, v23
	s_delay_alu instid0(VALU_DEP_3) | instskip(SKIP_2) | instid1(VALU_DEP_4)
	v_fma_f32 v55, v70, v20, -v14
	v_mul_f32_e32 v70, v74, v23
	v_fmac_f32_e32 v82, v71, v20
	v_fma_f32 v71, v74, v22, -v16
	s_wait_loadcnt 0x6
	v_mul_f32_e32 v14, v73, v25
	v_mul_f32_e32 v74, v72, v25
	;; [unrolled: 1-line block ×3, first 2 shown]
	v_dual_fmac_f32 v70, v75, v22 :: v_dual_mul_f32 v75, v76, v27
	s_delay_alu instid0(VALU_DEP_4)
	v_fma_f32 v72, v72, v24, -v14
	ds_load_2addr_b64 v[16:19], v94 offset0:84 offset1:174
	v_fmac_f32_e32 v74, v73, v24
	v_fma_f32 v73, v76, v26, -v20
	ds_load_2addr_b64 v[20:23], v95 offset0:88 offset1:178
	s_wait_loadcnt_dscnt 0x503
	v_dual_fmac_f32 v75, v77, v26 :: v_dual_mul_f32 v14, v7, v29
	v_mul_f32_e32 v76, v6, v29
	s_wait_dscnt 0x2
	v_mul_f32_e32 v24, v49, v31
	v_mul_f32_e32 v77, v48, v31
	s_wait_loadcnt 0x4
	v_mul_f32_e32 v90, v50, v35
	v_fma_f32 v83, v6, v28, -v14
	v_fmac_f32_e32 v76, v7, v28
	v_dual_mul_f32 v6, v9, v33 :: v_dual_mul_f32 v7, v51, v35
	v_mul_f32_e32 v88, v8, v33
	v_fma_f32 v48, v48, v30, -v24
	ds_load_b64 v[24:25], v84 offset:7200
	v_fma_f32 v89, v8, v32, -v6
	v_fma_f32 v50, v50, v34, -v7
	v_fmac_f32_e32 v88, v9, v32
	ds_load_2addr_b64 v[6:9], v61 offset0:8 offset1:98
	v_fmac_f32_e32 v77, v49, v30
	s_wait_loadcnt_dscnt 0x303
	v_mul_f32_e32 v14, v17, v37
	s_wait_dscnt 0x2
	v_dual_mul_f32 v26, v21, v39 :: v_dual_mul_f32 v91, v16, v37
	v_mul_f32_e32 v61, v20, v39
	s_delay_alu instid0(VALU_DEP_3) | instskip(NEXT) | instid1(VALU_DEP_3)
	v_fma_f32 v92, v16, v36, -v14
	v_fma_f32 v93, v20, v38, -v26
	s_wait_loadcnt 0x2
	v_mul_f32_e32 v16, v19, v41
	v_mul_f32_e32 v94, v18, v41
	ds_load_2addr_b32 v[14:15], v15 offset0:188 offset1:189
	v_mul_f32_e32 v26, v23, v43
	v_dual_mul_f32 v102, v22, v43 :: v_dual_fmac_f32 v91, v17, v36
	v_fmac_f32_e32 v61, v21, v38
	v_fma_f32 v95, v18, v40, -v16
	v_fmac_f32_e32 v94, v19, v40
	ds_load_b64 v[16:17], v87
	ds_load_b64 v[18:19], v101
	;; [unrolled: 1-line block ×3, first 2 shown]
	s_wait_loadcnt_dscnt 0x105
	v_mul_f32_e32 v27, v45, v25
	v_fma_f32 v103, v22, v42, -v26
	v_mul_f32_e32 v22, v45, v24
	v_fmac_f32_e32 v102, v23, v42
	s_wait_dscnt 0x4
	v_mul_f32_e32 v23, v47, v7
	v_fma_f32 v24, v44, v24, -v27
	v_sub_f32_e32 v36, v81, v54
	v_mul_f32_e32 v26, v47, v6
	v_fmac_f32_e32 v22, v44, v25
	s_wait_loadcnt 0x0
	v_mul_f32_e32 v25, v9, v5
	v_mul_f32_e32 v30, v8, v5
	v_fma_f32 v5, v46, v6, -v23
	s_wait_dscnt 0x3
	v_mul_f32_e32 v33, v3, v14
	v_fmac_f32_e32 v90, v51, v34
	v_fma_f32 v31, v8, v4, -v25
	v_sub_f32_e32 v44, v72, v73
	v_dual_sub_f32 v35, v24, v5 :: v_dual_fmac_f32 v26, v46, v7
	s_wait_dscnt 0x0
	v_dual_mul_f32 v6, v15, v3 :: v_dual_add_f32 v7, v21, v22
	v_fmac_f32_e32 v33, v15, v2
	v_sub_f32_e32 v51, v83, v48
	v_add_f32_e32 v3, v22, v26
	v_dual_sub_f32 v34, v22, v26 :: v_dual_add_f32 v45, v83, v48
	s_delay_alu instid0(VALU_DEP_2)
	v_fmac_f32_e32 v21, -0.5, v3
	v_add_f32_e32 v39, v82, v70
	v_fma_f32 v32, v2, v14, -v6
	v_add_f32_e32 v6, v20, v24
	v_fmac_f32_e32 v30, v9, v4
	v_dual_add_f32 v4, v24, v5 :: v_dual_add_f32 v3, v7, v26
	s_delay_alu instid0(VALU_DEP_3)
	v_add_f32_e32 v2, v6, v5
	ds_load_b64 v[6:7], v100
	ds_load_b64 v[8:9], v13
	;; [unrolled: 1-line block ×7, first 2 shown]
	v_fmamk_f32 v5, v35, 0xbf5db3d7, v21
	v_fmac_f32_e32 v21, 0x3f5db3d7, v35
	v_sub_f32_e32 v42, v55, v71
	v_add_f32_e32 v43, v74, v75
	global_wb scope:SCOPE_SE
	s_wait_dscnt 0x0
	s_barrier_signal -1
	s_barrier_wait -1
	global_inv scope:SCOPE_SE
	v_sub_f32_e32 v35, v80, v53
	v_add_f32_e32 v37, v9, v82
	v_fmac_f32_e32 v9, -0.5, v39
	v_add_f32_e32 v39, v14, v72
	v_fma_f32 v20, -0.5, v4, v20
	v_add_f32_e32 v41, v15, v74
	v_fmac_f32_e32 v15, -0.5, v43
	v_add_f32_e32 v38, v8, v55
	v_dual_add_f32 v40, v39, v73 :: v_dual_fmamk_f32 v39, v42, 0xbf5db3d7, v9
	s_delay_alu instid0(VALU_DEP_4)
	v_dual_add_f32 v41, v41, v75 :: v_dual_fmamk_f32 v4, v34, 0x3f5db3d7, v20
	v_fmac_f32_e32 v9, 0x3f5db3d7, v42
	v_fmac_f32_e32 v20, 0xbf5db3d7, v34
	v_add_f32_e32 v34, v32, v31
	ds_store_b64 v84, v[2:3]
	ds_store_b64 v84, v[4:5] offset:7200
	ds_store_b64 v84, v[20:21] offset:14400
	v_dual_add_f32 v2, v18, v32 :: v_dual_fmamk_f32 v43, v44, 0xbf5db3d7, v15
	v_dual_add_f32 v3, v33, v30 :: v_dual_add_f32 v4, v19, v33
	v_fmac_f32_e32 v15, 0x3f5db3d7, v44
	v_fma_f32 v18, -0.5, v34, v18
	s_delay_alu instid0(VALU_DEP_4) | instskip(NEXT) | instid1(VALU_DEP_4)
	v_dual_sub_f32 v5, v33, v30 :: v_dual_add_f32 v2, v2, v31
	v_fmac_f32_e32 v19, -0.5, v3
	v_add_f32_e32 v3, v4, v30
	v_add_f32_e32 v21, v0, v52
	v_dual_add_f32 v30, v6, v0 :: v_dual_add_f32 v49, v76, v77
	v_dual_add_f32 v33, v78, v79 :: v_dual_add_f32 v46, v27, v76
	v_dual_sub_f32 v20, v32, v31 :: v_dual_add_f32 v31, v7, v78
	v_dual_fmamk_f32 v4, v5, 0x3f5db3d7, v18 :: v_dual_sub_f32 v47, v76, v77
	s_delay_alu instid0(VALU_DEP_2)
	v_dual_fmac_f32 v18, 0xbf5db3d7, v5 :: v_dual_fmamk_f32 v5, v20, 0xbf5db3d7, v19
	v_fma_f32 v6, -0.5, v21, v6
	v_dual_sub_f32 v32, v78, v79 :: v_dual_fmac_f32 v27, -0.5, v49
	v_fmac_f32_e32 v19, 0x3f5db3d7, v20
	v_add_f32_e32 v21, v31, v79
	v_fmac_f32_e32 v7, -0.5, v33
	v_add_f32_e32 v31, v81, v54
	v_add_f32_e32 v33, v17, v80
	v_sub_f32_e32 v0, v0, v52
	v_dual_add_f32 v34, v80, v53 :: v_dual_add_f32 v49, v23, v88
	v_add_f32_e32 v20, v30, v52
	v_add_f32_e32 v52, v88, v90
	v_fmamk_f32 v30, v32, 0x3f5db3d7, v6
	v_fmac_f32_e32 v6, 0xbf5db3d7, v32
	v_add_f32_e32 v32, v16, v81
	v_fma_f32 v16, -0.5, v31, v16
	v_fmac_f32_e32 v23, -0.5, v52
	v_fmamk_f32 v31, v0, 0xbf5db3d7, v7
	v_dual_fmac_f32 v7, 0x3f5db3d7, v0 :: v_dual_sub_f32 v52, v89, v50
	v_dual_add_f32 v0, v55, v71 :: v_dual_fmac_f32 v17, -0.5, v34
	v_add_f32_e32 v37, v37, v70
	v_dual_add_f32 v32, v32, v54 :: v_dual_sub_f32 v55, v91, v61
	s_delay_alu instid0(VALU_DEP_3)
	v_fma_f32 v8, -0.5, v0, v8
	v_sub_f32_e32 v0, v82, v70
	v_add_f32_e32 v70, v91, v61
	v_dual_add_f32 v33, v33, v53 :: v_dual_fmamk_f32 v34, v35, 0x3f5db3d7, v16
	v_dual_add_f32 v53, v92, v93 :: v_dual_add_f32 v54, v29, v91
	v_dual_fmac_f32 v16, 0xbf5db3d7, v35 :: v_dual_fmamk_f32 v35, v36, 0xbf5db3d7, v17
	v_fmac_f32_e32 v17, 0x3f5db3d7, v36
	v_dual_fmac_f32 v29, -0.5, v70 :: v_dual_add_f32 v36, v38, v71
	v_fmamk_f32 v38, v0, 0x3f5db3d7, v8
	v_fmac_f32_e32 v8, 0xbf5db3d7, v0
	v_add_f32_e32 v0, v72, v73
	v_dual_sub_f32 v72, v92, v93 :: v_dual_add_f32 v73, v94, v102
	v_add_f32_e32 v49, v49, v90
	s_delay_alu instid0(VALU_DEP_3) | instskip(SKIP_1) | instid1(VALU_DEP_1)
	v_fma_f32 v14, -0.5, v0, v14
	v_sub_f32_e32 v0, v74, v75
	v_fmamk_f32 v42, v0, 0x3f5db3d7, v14
	v_fmac_f32_e32 v14, 0xbf5db3d7, v0
	v_add_f32_e32 v0, v26, v83
	v_fma_f32 v26, -0.5, v45, v26
	s_delay_alu instid0(VALU_DEP_2) | instskip(SKIP_1) | instid1(VALU_DEP_3)
	v_dual_add_f32 v45, v46, v77 :: v_dual_add_f32 v44, v0, v48
	v_add_f32_e32 v0, v89, v50
	v_fmamk_f32 v46, v47, 0x3f5db3d7, v26
	v_dual_fmac_f32 v26, 0xbf5db3d7, v47 :: v_dual_add_f32 v47, v22, v89
	s_delay_alu instid0(VALU_DEP_3) | instskip(SKIP_1) | instid1(VALU_DEP_3)
	v_fma_f32 v22, -0.5, v0, v22
	v_sub_f32_e32 v0, v88, v90
	v_add_f32_e32 v48, v47, v50
	v_fmamk_f32 v47, v51, 0xbf5db3d7, v27
	s_delay_alu instid0(VALU_DEP_3)
	v_dual_fmac_f32 v27, 0x3f5db3d7, v51 :: v_dual_fmamk_f32 v50, v0, 0x3f5db3d7, v22
	v_fmac_f32_e32 v22, 0xbf5db3d7, v0
	v_add_f32_e32 v0, v28, v92
	v_fmamk_f32 v51, v52, 0xbf5db3d7, v23
	v_fma_f32 v28, -0.5, v53, v28
	v_fmac_f32_e32 v23, 0x3f5db3d7, v52
	v_add_f32_e32 v53, v54, v61
	v_add_f32_e32 v52, v0, v93
	v_dual_add_f32 v0, v95, v103 :: v_dual_add_f32 v61, v25, v94
	v_fmamk_f32 v54, v55, 0x3f5db3d7, v28
	v_fmac_f32_e32 v28, 0xbf5db3d7, v55
	v_add_f32_e32 v55, v24, v95
	s_delay_alu instid0(VALU_DEP_4) | instskip(SKIP_4) | instid1(VALU_DEP_3)
	v_fma_f32 v24, -0.5, v0, v24
	v_add_f32_e32 v71, v61, v102
	v_dual_sub_f32 v0, v94, v102 :: v_dual_fmac_f32 v25, -0.5, v73
	v_sub_f32_e32 v61, v95, v103
	v_dual_add_f32 v70, v55, v103 :: v_dual_fmamk_f32 v55, v72, 0xbf5db3d7, v29
	v_dual_fmac_f32 v29, 0x3f5db3d7, v72 :: v_dual_fmamk_f32 v72, v0, 0x3f5db3d7, v24
	s_delay_alu instid0(VALU_DEP_3)
	v_dual_fmac_f32 v24, 0xbf5db3d7, v0 :: v_dual_fmamk_f32 v73, v61, 0xbf5db3d7, v25
	v_fmac_f32_e32 v25, 0x3f5db3d7, v61
	ds_store_b64 v101, v[2:3]
	ds_store_b64 v101, v[4:5] offset:7200
	ds_store_b64 v101, v[18:19] offset:14400
	ds_store_b64 v100, v[20:21]
	ds_store_b64 v100, v[30:31] offset:7200
	ds_store_b64 v100, v[6:7] offset:14400
	;; [unrolled: 3-line block ×9, first 2 shown]
	global_wb scope:SCOPE_SE
	s_wait_dscnt 0x0
	s_barrier_signal -1
	s_barrier_wait -1
	global_inv scope:SCOPE_SE
	ds_load_b64 v[6:7], v84
	v_sub_nc_u32_e32 v8, 0, v57
                                        ; implicit-def: $vgpr5
                                        ; implicit-def: $vgpr0
                                        ; implicit-def: $vgpr2_vgpr3
	v_cmpx_ne_u32_e32 0, v56
	s_wait_alu 0xfffe
	s_xor_b32 s1, exec_lo, s1
	s_cbranch_execz .LBB0_15
; %bb.14:
	ds_load_b64 v[3:4], v8 offset:21600
	v_mov_b32_e32 v57, v1
	s_delay_alu instid0(VALU_DEP_1) | instskip(NEXT) | instid1(VALU_DEP_1)
	v_lshlrev_b64_e32 v[0:1], 3, v[56:57]
	v_add_co_u32 v0, s0, s4, v0
	s_wait_alu 0xf1ff
	s_delay_alu instid0(VALU_DEP_2) | instskip(SKIP_4) | instid1(VALU_DEP_2)
	v_add_co_ci_u32_e64 v1, s0, s5, v1, s0
	global_load_b64 v[1:2], v[0:1], off offset:21576
	s_wait_dscnt 0x0
	v_sub_f32_e32 v0, v6, v3
	v_dual_add_f32 v5, v4, v7 :: v_dual_sub_f32 v4, v7, v4
	v_dual_mul_f32 v7, 0.5, v0 :: v_dual_add_f32 v0, v3, v6
	s_delay_alu instid0(VALU_DEP_2) | instskip(SKIP_1) | instid1(VALU_DEP_2)
	v_dual_mul_f32 v3, 0.5, v5 :: v_dual_mul_f32 v4, 0.5, v4
	s_wait_loadcnt 0x0
	v_mul_f32_e32 v5, v2, v7
	s_delay_alu instid0(VALU_DEP_2) | instskip(SKIP_1) | instid1(VALU_DEP_3)
	v_fma_f32 v6, v3, v2, v4
	v_fma_f32 v2, v3, v2, -v4
	v_fma_f32 v9, 0.5, v0, v5
	v_fma_f32 v5, v0, 0.5, -v5
	s_delay_alu instid0(VALU_DEP_4) | instskip(NEXT) | instid1(VALU_DEP_3)
	v_fma_f32 v0, -v1, v7, v6
	v_fmac_f32_e32 v9, v1, v3
	s_delay_alu instid0(VALU_DEP_3)
	v_fma_f32 v4, -v1, v3, v5
	v_fma_f32 v5, -v1, v7, v2
	v_dual_mov_b32 v2, v56 :: v_dual_mov_b32 v3, v57
	ds_store_b32 v84, v9
                                        ; implicit-def: $vgpr6_vgpr7
.LBB0_15:
	s_wait_alu 0xfffe
	s_or_saveexec_b32 s0, s1
	v_sub_nc_u32_e32 v14, 0, v96
	v_sub_nc_u32_e32 v9, 0, v97
	s_wait_alu 0xfffe
	s_xor_b32 exec_lo, exec_lo, s0
	s_cbranch_execz .LBB0_17
; %bb.16:
	s_wait_dscnt 0x0
	v_dual_mov_b32 v0, 0 :: v_dual_add_f32 v15, v6, v7
	v_mov_b32_e32 v2, 0
	v_dual_sub_f32 v4, v6, v7 :: v_dual_mov_b32 v3, 0
	ds_load_b32 v1, v0 offset:10804
	v_mov_b32_e32 v5, v0
	s_wait_dscnt 0x0
	v_xor_b32_e32 v1, 0x80000000, v1
	ds_store_b32 v84, v15
	ds_store_b32 v0, v1 offset:10804
.LBB0_17:
	s_or_b32 exec_lo, exec_lo, s0
	v_mov_b32_e32 v61, 0
	v_add_nc_u32_e32 v9, v85, v9
	s_wait_dscnt 0x0
	s_delay_alu instid0(VALU_DEP_2) | instskip(SKIP_1) | instid1(VALU_DEP_1)
	v_lshlrev_b64_e32 v[6:7], 3, v[60:61]
	v_mov_b32_e32 v70, v61
	v_lshlrev_b64_e32 v[15:16], 3, v[69:70]
	v_mov_b32_e32 v69, v61
	s_delay_alu instid0(VALU_DEP_4) | instskip(SKIP_2) | instid1(VALU_DEP_4)
	v_add_co_u32 v6, s0, s4, v6
	s_wait_alu 0xf1ff
	v_add_co_ci_u32_e64 v7, s0, s5, v7, s0
	v_add_co_u32 v15, s0, s4, v15
	s_wait_alu 0xf1ff
	v_add_co_ci_u32_e64 v16, s0, s5, v16, s0
	global_load_b64 v[6:7], v[6:7], off offset:21576
	v_lshlrev_b64_e32 v[17:18], 3, v[68:69]
	v_mov_b32_e32 v68, v61
	global_load_b64 v[15:16], v[15:16], off offset:21576
	v_add_co_u32 v17, s0, s4, v17
	s_wait_alu 0xf1ff
	v_add_co_ci_u32_e64 v18, s0, s5, v18, s0
	v_lshlrev_b64_e32 v[19:20], 3, v[67:68]
	v_mov_b32_e32 v67, v61
	global_load_b64 v[17:18], v[17:18], off offset:21576
	v_add_co_u32 v19, s0, s4, v19
	s_wait_alu 0xf1ff
	v_add_co_ci_u32_e64 v20, s0, s5, v20, s0
	;; [unrolled: 6-line block ×4, first 2 shown]
	v_lshlrev_b64_e32 v[25:26], 3, v[64:65]
	global_load_b64 v[23:24], v[23:24], off offset:21576
	ds_store_b32 v84, v0 offset:4
	ds_store_b64 v8, v[4:5] offset:21600
	v_add_co_u32 v0, s0, s4, v25
	s_wait_alu 0xf1ff
	v_add_co_ci_u32_e64 v1, s0, s5, v26, s0
	ds_load_b64 v[4:5], v101
	ds_load_b64 v[25:26], v8 offset:20880
	global_load_b64 v[27:28], v[0:1], off offset:21576
	s_wait_dscnt 0x0
	v_dual_sub_f32 v0, v4, v25 :: v_dual_add_f32 v1, v5, v26
	v_sub_f32_e32 v5, v5, v26
	v_mov_b32_e32 v64, v61
	s_delay_alu instid0(VALU_DEP_3) | instskip(NEXT) | instid1(VALU_DEP_3)
	v_dual_mul_f32 v26, 0.5, v0 :: v_dual_mul_f32 v29, 0.5, v1
	v_mul_f32_e32 v0, 0.5, v5
	s_wait_loadcnt 0x6
	s_delay_alu instid0(VALU_DEP_2) | instskip(NEXT) | instid1(VALU_DEP_2)
	v_dual_add_f32 v1, v4, v25 :: v_dual_mul_f32 v4, v7, v26
	v_fma_f32 v25, v29, v7, v0
	v_fma_f32 v7, v29, v7, -v0
	s_delay_alu instid0(VALU_DEP_3) | instskip(SKIP_1) | instid1(VALU_DEP_4)
	v_fma_f32 v0, 0.5, v1, v4
	v_fma_f32 v30, v1, 0.5, -v4
	v_fma_f32 v1, -v6, v26, v25
	s_delay_alu instid0(VALU_DEP_4)
	v_fma_f32 v7, -v6, v26, v7
	v_lshlrev_b64_e32 v[4:5], 3, v[63:64]
	v_fmac_f32_e32 v0, v6, v29
	v_fma_f32 v6, -v6, v29, v30
	ds_store_b64 v101, v[0:1]
	ds_store_b64 v8, v[6:7] offset:20880
	ds_load_b64 v[0:1], v100
	ds_load_b64 v[6:7], v8 offset:20160
	v_add_co_u32 v4, s0, s4, v4
	s_wait_alu 0xf1ff
	v_add_co_ci_u32_e64 v5, s0, s5, v5, s0
	global_load_b64 v[4:5], v[4:5], off offset:21576
	s_wait_dscnt 0x0
	v_dual_sub_f32 v25, v0, v6 :: v_dual_add_f32 v26, v1, v7
	v_dual_sub_f32 v1, v1, v7 :: v_dual_add_f32 v6, v0, v6
	s_delay_alu instid0(VALU_DEP_2) | instskip(NEXT) | instid1(VALU_DEP_2)
	v_dual_mul_f32 v25, 0.5, v25 :: v_dual_mul_f32 v26, 0.5, v26
	v_mul_f32_e32 v1, 0.5, v1
	s_wait_loadcnt 0x6
	s_delay_alu instid0(VALU_DEP_2) | instskip(NEXT) | instid1(VALU_DEP_2)
	v_mul_f32_e32 v7, v16, v25
	v_fma_f32 v29, v26, v16, v1
	v_fma_f32 v16, v26, v16, -v1
	s_delay_alu instid0(VALU_DEP_3) | instskip(NEXT) | instid1(VALU_DEP_3)
	v_fma_f32 v0, 0.5, v6, v7
	v_fma_f32 v1, -v15, v25, v29
	s_delay_alu instid0(VALU_DEP_3) | instskip(NEXT) | instid1(VALU_DEP_3)
	v_fma_f32 v16, -v15, v25, v16
	v_fmac_f32_e32 v0, v15, v26
	v_fma_f32 v30, v6, 0.5, -v7
	s_delay_alu instid0(VALU_DEP_1)
	v_fma_f32 v15, -v15, v26, v30
	ds_store_b64 v100, v[0:1]
	ds_store_b64 v8, v[15:16] offset:20160
	ds_load_b64 v[0:1], v87
	ds_load_b64 v[15:16], v8 offset:19440
	s_wait_dscnt 0x0
	v_dual_sub_f32 v25, v0, v15 :: v_dual_add_f32 v26, v1, v16
	v_mov_b32_e32 v63, v61
	v_sub_f32_e32 v1, v1, v16
	s_delay_alu instid0(VALU_DEP_3) | instskip(NEXT) | instid1(VALU_DEP_3)
	v_dual_add_f32 v15, v0, v15 :: v_dual_mul_f32 v26, 0.5, v26
	v_lshlrev_b64_e32 v[6:7], 3, v[62:63]
	v_mul_f32_e32 v25, 0.5, v25
	s_delay_alu instid0(VALU_DEP_4) | instskip(SKIP_1) | instid1(VALU_DEP_4)
	v_mul_f32_e32 v16, 0.5, v1
	v_lshlrev_b64_e32 v[0:1], 3, v[2:3]
	v_add_co_u32 v6, s0, s4, v6
	s_wait_alu 0xf1ff
	v_add_co_ci_u32_e64 v7, s0, s5, v7, s0
	s_wait_loadcnt 0x5
	v_mul_f32_e32 v29, v18, v25
	v_fma_f32 v3, v26, v18, v16
	s_add_nc_u64 s[0:1], s[4:5], 0x5448
	global_load_b64 v[6:7], v[6:7], off offset:21576
	v_fma_f32 v18, v26, v18, -v16
	v_fma_f32 v2, 0.5, v15, v29
	v_fma_f32 v29, v15, 0.5, -v29
	s_wait_alu 0xfffe
	v_add_co_u32 v15, s0, s0, v0
	s_wait_alu 0xf1ff
	v_add_co_ci_u32_e64 v16, s0, s1, v1, s0
	v_fmac_f32_e32 v2, v17, v26
	v_fma_f32 v3, -v17, v25, v3
	v_fma_f32 v18, -v17, v25, v18
	;; [unrolled: 1-line block ×3, first 2 shown]
	global_load_b64 v[25:26], v[15:16], off offset:7200
	ds_store_b64 v87, v[2:3]
	ds_store_b64 v8, v[17:18] offset:19440
	ds_load_b64 v[2:3], v13
	ds_load_b64 v[17:18], v8 offset:18720
	s_wait_dscnt 0x0
	v_dual_sub_f32 v29, v2, v17 :: v_dual_add_f32 v30, v3, v18
	v_sub_f32_e32 v3, v3, v18
	v_add_f32_e32 v17, v2, v17
	s_delay_alu instid0(VALU_DEP_3) | instskip(SKIP_1) | instid1(VALU_DEP_1)
	v_dual_mul_f32 v18, 0.5, v29 :: v_dual_mul_f32 v29, 0.5, v30
	s_wait_loadcnt 0x6
	v_mul_f32_e32 v30, v20, v18
	s_delay_alu instid0(VALU_DEP_1) | instskip(SKIP_2) | instid1(VALU_DEP_3)
	v_fma_f32 v2, 0.5, v17, v30
	v_mul_f32_e32 v3, 0.5, v3
	v_fma_f32 v17, v17, 0.5, -v30
	v_fmac_f32_e32 v2, v19, v29
	s_delay_alu instid0(VALU_DEP_3) | instskip(SKIP_1) | instid1(VALU_DEP_4)
	v_fma_f32 v31, v29, v20, v3
	v_fma_f32 v20, v29, v20, -v3
	v_fma_f32 v17, -v19, v29, v17
	s_delay_alu instid0(VALU_DEP_3) | instskip(NEXT) | instid1(VALU_DEP_3)
	v_fma_f32 v3, -v19, v18, v31
	v_fma_f32 v18, -v19, v18, v20
	global_load_b64 v[19:20], v[15:16], off offset:7920
	ds_store_b64 v13, v[2:3]
	ds_store_b64 v8, v[17:18] offset:18720
	ds_load_b64 v[2:3], v12
	ds_load_b64 v[17:18], v8 offset:18000
	s_wait_dscnt 0x0
	v_sub_f32_e32 v13, v2, v17
	v_add_f32_e32 v29, v3, v18
	v_add_f32_e32 v17, v2, v17
	s_delay_alu instid0(VALU_DEP_3) | instskip(NEXT) | instid1(VALU_DEP_3)
	v_mul_f32_e32 v13, 0.5, v13
	v_mul_f32_e32 v29, 0.5, v29
	s_wait_loadcnt 0x6
	s_delay_alu instid0(VALU_DEP_2) | instskip(NEXT) | instid1(VALU_DEP_1)
	v_dual_sub_f32 v3, v3, v18 :: v_dual_mul_f32 v18, v22, v13
	v_fma_f32 v2, 0.5, v17, v18
	v_fma_f32 v17, v17, 0.5, -v18
	s_delay_alu instid0(VALU_DEP_2) | instskip(NEXT) | instid1(VALU_DEP_2)
	v_dual_fmac_f32 v2, v21, v29 :: v_dual_mul_f32 v3, 0.5, v3
	v_fma_f32 v17, -v21, v29, v17
	s_delay_alu instid0(VALU_DEP_2) | instskip(SKIP_2) | instid1(VALU_DEP_3)
	v_fma_f32 v30, v29, v22, v3
	v_fma_f32 v22, v29, v22, -v3
	v_add_nc_u32_e32 v29, v86, v14
	v_fma_f32 v3, -v21, v13, v30
	s_delay_alu instid0(VALU_DEP_3)
	v_fma_f32 v18, -v21, v13, v22
	global_load_b64 v[13:14], v[15:16], off offset:8640
	ds_store_b64 v12, v[2:3]
	ds_store_b64 v8, v[17:18] offset:18000
	ds_load_b64 v[2:3], v29
	ds_load_b64 v[17:18], v8 offset:17280
	s_wait_dscnt 0x0
	v_dual_sub_f32 v12, v2, v17 :: v_dual_add_f32 v21, v3, v18
	v_sub_f32_e32 v3, v3, v18
	s_delay_alu instid0(VALU_DEP_2) | instskip(NEXT) | instid1(VALU_DEP_3)
	v_dual_add_f32 v17, v2, v17 :: v_dual_mul_f32 v12, 0.5, v12
	v_mul_f32_e32 v21, 0.5, v21
	s_wait_loadcnt 0x6
	s_delay_alu instid0(VALU_DEP_2) | instskip(NEXT) | instid1(VALU_DEP_1)
	v_dual_mul_f32 v3, 0.5, v3 :: v_dual_mul_f32 v18, v24, v12
	v_fma_f32 v22, v21, v24, v3
	v_fma_f32 v24, v21, v24, -v3
	s_delay_alu instid0(VALU_DEP_3) | instskip(SKIP_1) | instid1(VALU_DEP_4)
	v_fma_f32 v2, 0.5, v17, v18
	v_fma_f32 v17, v17, 0.5, -v18
	v_fma_f32 v3, -v23, v12, v22
	s_delay_alu instid0(VALU_DEP_4) | instskip(NEXT) | instid1(VALU_DEP_4)
	v_fma_f32 v18, -v23, v12, v24
	v_fmac_f32_e32 v2, v23, v21
	s_delay_alu instid0(VALU_DEP_4)
	v_fma_f32 v17, -v23, v21, v17
	global_load_b64 v[21:22], v[15:16], off offset:9360
	ds_store_b64 v29, v[2:3]
	ds_store_b64 v8, v[17:18] offset:17280
	ds_load_b64 v[2:3], v11
	ds_load_b64 v[17:18], v8 offset:16560
	global_load_b64 v[15:16], v[15:16], off offset:10080
	s_wait_dscnt 0x0
	v_dual_sub_f32 v12, v2, v17 :: v_dual_add_f32 v23, v3, v18
	v_sub_f32_e32 v3, v3, v18
	s_delay_alu instid0(VALU_DEP_2) | instskip(NEXT) | instid1(VALU_DEP_3)
	v_dual_add_f32 v17, v2, v17 :: v_dual_mul_f32 v12, 0.5, v12
	v_mul_f32_e32 v23, 0.5, v23
	s_wait_loadcnt 0x7
	s_delay_alu instid0(VALU_DEP_2) | instskip(NEXT) | instid1(VALU_DEP_1)
	v_dual_mul_f32 v3, 0.5, v3 :: v_dual_mul_f32 v18, v28, v12
	v_fma_f32 v24, v23, v28, v3
	v_fma_f32 v28, v23, v28, -v3
	s_delay_alu instid0(VALU_DEP_3) | instskip(SKIP_1) | instid1(VALU_DEP_4)
	v_fma_f32 v2, 0.5, v17, v18
	v_fma_f32 v17, v17, 0.5, -v18
	v_fma_f32 v3, -v27, v12, v24
	s_delay_alu instid0(VALU_DEP_4) | instskip(NEXT) | instid1(VALU_DEP_4)
	v_fma_f32 v18, -v27, v12, v28
	v_fmac_f32_e32 v2, v27, v23
	s_delay_alu instid0(VALU_DEP_4)
	v_fma_f32 v17, -v27, v23, v17
	ds_store_b64 v11, v[2:3]
	ds_store_b64 v8, v[17:18] offset:16560
	ds_load_b64 v[2:3], v10
	ds_load_b64 v[11:12], v8 offset:15840
	s_wait_dscnt 0x0
	v_dual_sub_f32 v17, v2, v11 :: v_dual_add_f32 v18, v3, v12
	v_sub_f32_e32 v3, v3, v12
	s_delay_alu instid0(VALU_DEP_2) | instskip(NEXT) | instid1(VALU_DEP_3)
	v_dual_add_f32 v11, v2, v11 :: v_dual_mul_f32 v12, 0.5, v17
	v_mul_f32_e32 v17, 0.5, v18
	s_wait_loadcnt 0x6
	s_delay_alu instid0(VALU_DEP_2) | instskip(NEXT) | instid1(VALU_DEP_1)
	v_dual_mul_f32 v3, 0.5, v3 :: v_dual_mul_f32 v18, v5, v12
	v_fma_f32 v23, v17, v5, v3
	v_fma_f32 v5, v17, v5, -v3
	s_delay_alu instid0(VALU_DEP_3) | instskip(SKIP_1) | instid1(VALU_DEP_4)
	v_fma_f32 v2, 0.5, v11, v18
	v_fma_f32 v11, v11, 0.5, -v18
	v_fma_f32 v3, -v4, v12, v23
	s_delay_alu instid0(VALU_DEP_4) | instskip(NEXT) | instid1(VALU_DEP_4)
	v_fma_f32 v5, -v4, v12, v5
	v_fmac_f32_e32 v2, v4, v17
	s_delay_alu instid0(VALU_DEP_4)
	v_fma_f32 v4, -v4, v17, v11
	ds_store_b64 v10, v[2:3]
	ds_store_b64 v8, v[4:5] offset:15840
	ds_load_b64 v[2:3], v9
	ds_load_b64 v[4:5], v8 offset:15120
	s_wait_dscnt 0x0
	v_dual_sub_f32 v10, v2, v4 :: v_dual_add_f32 v11, v3, v5
	v_dual_sub_f32 v3, v3, v5 :: v_dual_add_f32 v4, v2, v4
	s_delay_alu instid0(VALU_DEP_2) | instskip(NEXT) | instid1(VALU_DEP_2)
	v_dual_mul_f32 v5, 0.5, v10 :: v_dual_mul_f32 v10, 0.5, v11
	v_mul_f32_e32 v3, 0.5, v3
	s_wait_loadcnt 0x5
	s_delay_alu instid0(VALU_DEP_2) | instskip(NEXT) | instid1(VALU_DEP_2)
	v_mul_f32_e32 v11, v7, v5
	v_fma_f32 v12, v10, v7, v3
	v_fma_f32 v7, v10, v7, -v3
	s_delay_alu instid0(VALU_DEP_3) | instskip(SKIP_1) | instid1(VALU_DEP_4)
	v_fma_f32 v2, 0.5, v4, v11
	v_fma_f32 v4, v4, 0.5, -v11
	v_fma_f32 v3, -v6, v5, v12
	s_delay_alu instid0(VALU_DEP_4) | instskip(NEXT) | instid1(VALU_DEP_4)
	v_fma_f32 v5, -v6, v5, v7
	v_fmac_f32_e32 v2, v6, v10
	s_delay_alu instid0(VALU_DEP_4)
	v_fma_f32 v4, -v6, v10, v4
	ds_store_b64 v9, v[2:3]
	ds_store_b64 v8, v[4:5] offset:15120
	ds_load_b64 v[2:3], v84 offset:7200
	ds_load_b64 v[4:5], v8 offset:14400
	s_wait_dscnt 0x0
	v_dual_sub_f32 v6, v2, v4 :: v_dual_add_f32 v7, v3, v5
	v_dual_sub_f32 v3, v3, v5 :: v_dual_add_f32 v4, v2, v4
	s_delay_alu instid0(VALU_DEP_2) | instskip(NEXT) | instid1(VALU_DEP_2)
	v_dual_mul_f32 v5, 0.5, v6 :: v_dual_mul_f32 v6, 0.5, v7
	v_mul_f32_e32 v3, 0.5, v3
	s_wait_loadcnt 0x4
	s_delay_alu instid0(VALU_DEP_2) | instskip(NEXT) | instid1(VALU_DEP_2)
	v_mul_f32_e32 v7, v26, v5
	v_fma_f32 v9, v6, v26, v3
	v_fma_f32 v10, v6, v26, -v3
	s_delay_alu instid0(VALU_DEP_3) | instskip(SKIP_1) | instid1(VALU_DEP_4)
	v_fma_f32 v2, 0.5, v4, v7
	v_fma_f32 v4, v4, 0.5, -v7
	v_fma_f32 v3, -v25, v5, v9
	s_delay_alu instid0(VALU_DEP_4) | instskip(NEXT) | instid1(VALU_DEP_4)
	v_fma_f32 v5, -v25, v5, v10
	v_fmac_f32_e32 v2, v25, v6
	s_delay_alu instid0(VALU_DEP_4)
	v_fma_f32 v4, -v25, v6, v4
	ds_store_b64 v84, v[2:3] offset:7200
	ds_store_b64 v8, v[4:5] offset:14400
	ds_load_b64 v[2:3], v84 offset:7920
	ds_load_b64 v[4:5], v8 offset:13680
	s_wait_dscnt 0x0
	v_dual_sub_f32 v6, v2, v4 :: v_dual_add_f32 v7, v3, v5
	v_dual_sub_f32 v3, v3, v5 :: v_dual_add_f32 v4, v2, v4
	s_delay_alu instid0(VALU_DEP_2) | instskip(NEXT) | instid1(VALU_DEP_2)
	v_dual_mul_f32 v5, 0.5, v6 :: v_dual_mul_f32 v6, 0.5, v7
	v_mul_f32_e32 v3, 0.5, v3
	s_wait_loadcnt 0x3
	s_delay_alu instid0(VALU_DEP_2) | instskip(NEXT) | instid1(VALU_DEP_2)
	v_mul_f32_e32 v7, v20, v5
	v_fma_f32 v9, v6, v20, v3
	v_fma_f32 v10, v6, v20, -v3
	s_delay_alu instid0(VALU_DEP_3) | instskip(SKIP_1) | instid1(VALU_DEP_4)
	v_fma_f32 v2, 0.5, v4, v7
	v_fma_f32 v4, v4, 0.5, -v7
	v_fma_f32 v3, -v19, v5, v9
	s_delay_alu instid0(VALU_DEP_4) | instskip(NEXT) | instid1(VALU_DEP_4)
	v_fma_f32 v5, -v19, v5, v10
	v_fmac_f32_e32 v2, v19, v6
	s_delay_alu instid0(VALU_DEP_4)
	v_fma_f32 v4, -v19, v6, v4
	ds_store_b64 v84, v[2:3] offset:7920
	;; [unrolled: 24-line block ×5, first 2 shown]
	ds_store_b64 v8, v[4:5] offset:11520
	global_wb scope:SCOPE_SE
	s_wait_dscnt 0x0
	s_barrier_signal -1
	s_barrier_wait -1
	global_inv scope:SCOPE_SE
	s_and_saveexec_b32 s0, vcc_lo
	s_cbranch_execz .LBB0_20
; %bb.18:
	v_add_nc_u32_e32 v2, 0x400, v84
	v_add_nc_u32_e32 v12, 0x800, v84
	;; [unrolled: 1-line block ×4, first 2 shown]
	ds_load_2addr_b64 v[4:7], v84 offset1:90
	ds_load_2addr_b64 v[8:11], v2 offset0:52 offset1:142
	v_add_nc_u32_e32 v24, 0x1800, v84
	v_add_nc_u32_e32 v28, 0x2000, v84
	ds_load_2addr_b64 v[12:15], v12 offset0:104 offset1:194
	ds_load_2addr_b64 v[16:19], v16 offset0:28 offset1:118
	;; [unrolled: 1-line block ×5, first 2 shown]
	v_add_co_u32 v2, vcc_lo, s8, v58
	s_wait_alu 0xfffd
	v_add_co_ci_u32_e32 v3, vcc_lo, s9, v59, vcc_lo
	v_add_nc_u32_e32 v32, 0x2400, v84
	s_delay_alu instid0(VALU_DEP_3) | instskip(SKIP_1) | instid1(VALU_DEP_3)
	v_add_co_u32 v0, vcc_lo, v2, v0
	s_wait_alu 0xfffd
	v_add_co_ci_u32_e32 v1, vcc_lo, v3, v1, vcc_lo
	v_add_nc_u32_e32 v44, 0x4000, v84
	v_add_nc_u32_e32 v33, 0x3000, v84
	;; [unrolled: 1-line block ×6, first 2 shown]
	v_cmp_eq_u32_e32 vcc_lo, 0x59, v56
	s_wait_dscnt 0x6
	s_clause 0x1
	global_store_b64 v[0:1], v[4:5], off
	global_store_b64 v[0:1], v[6:7], off offset:720
	s_wait_dscnt 0x5
	s_clause 0x1
	global_store_b64 v[0:1], v[8:9], off offset:1440
	global_store_b64 v[0:1], v[10:11], off offset:2160
	v_add_nc_u32_e32 v8, 0x2800, v84
	ds_load_2addr_b64 v[4:7], v32 offset0:108 offset1:198
	ds_load_2addr_b64 v[8:11], v8 offset0:160 offset1:250
	;; [unrolled: 1-line block ×5, first 2 shown]
	s_wait_dscnt 0x9
	s_clause 0x1
	global_store_b64 v[0:1], v[12:13], off offset:2880
	global_store_b64 v[0:1], v[14:15], off offset:3600
	s_wait_dscnt 0x8
	s_clause 0x1
	global_store_b64 v[0:1], v[16:17], off offset:4320
	global_store_b64 v[0:1], v[18:19], off offset:5040
	ds_load_2addr_b64 v[12:15], v44 offset0:112 offset1:202
	ds_load_2addr_b64 v[16:19], v45 offset0:36 offset1:126
	;; [unrolled: 1-line block ×3, first 2 shown]
	s_wait_dscnt 0xa
	s_clause 0x1
	global_store_b64 v[0:1], v[20:21], off offset:5760
	global_store_b64 v[0:1], v[22:23], off offset:6480
	s_wait_dscnt 0x9
	s_clause 0x1
	global_store_b64 v[0:1], v[24:25], off offset:7200
	global_store_b64 v[0:1], v[26:27], off offset:7920
	;; [unrolled: 4-line block ×11, first 2 shown]
	s_and_b32 exec_lo, exec_lo, vcc_lo
	s_cbranch_execz .LBB0_20
; %bb.19:
	v_mov_b32_e32 v0, 0
	ds_load_b64 v[0:1], v0 offset:21600
	s_wait_dscnt 0x0
	global_store_b64 v[2:3], v[0:1], off offset:21600
.LBB0_20:
	s_nop 0
	s_sendmsg sendmsg(MSG_DEALLOC_VGPRS)
	s_endpgm
	.section	.rodata,"a",@progbits
	.p2align	6, 0x0
	.amdhsa_kernel fft_rtc_fwd_len2700_factors_3_10_10_3_3_wgs_90_tpt_90_halfLds_sp_ip_CI_unitstride_sbrr_R2C_dirReg
		.amdhsa_group_segment_fixed_size 0
		.amdhsa_private_segment_fixed_size 0
		.amdhsa_kernarg_size 88
		.amdhsa_user_sgpr_count 2
		.amdhsa_user_sgpr_dispatch_ptr 0
		.amdhsa_user_sgpr_queue_ptr 0
		.amdhsa_user_sgpr_kernarg_segment_ptr 1
		.amdhsa_user_sgpr_dispatch_id 0
		.amdhsa_user_sgpr_private_segment_size 0
		.amdhsa_wavefront_size32 1
		.amdhsa_uses_dynamic_stack 0
		.amdhsa_enable_private_segment 0
		.amdhsa_system_sgpr_workgroup_id_x 1
		.amdhsa_system_sgpr_workgroup_id_y 0
		.amdhsa_system_sgpr_workgroup_id_z 0
		.amdhsa_system_sgpr_workgroup_info 0
		.amdhsa_system_vgpr_workitem_id 0
		.amdhsa_next_free_vgpr 141
		.amdhsa_next_free_sgpr 32
		.amdhsa_reserve_vcc 1
		.amdhsa_float_round_mode_32 0
		.amdhsa_float_round_mode_16_64 0
		.amdhsa_float_denorm_mode_32 3
		.amdhsa_float_denorm_mode_16_64 3
		.amdhsa_fp16_overflow 0
		.amdhsa_workgroup_processor_mode 1
		.amdhsa_memory_ordered 1
		.amdhsa_forward_progress 0
		.amdhsa_round_robin_scheduling 0
		.amdhsa_exception_fp_ieee_invalid_op 0
		.amdhsa_exception_fp_denorm_src 0
		.amdhsa_exception_fp_ieee_div_zero 0
		.amdhsa_exception_fp_ieee_overflow 0
		.amdhsa_exception_fp_ieee_underflow 0
		.amdhsa_exception_fp_ieee_inexact 0
		.amdhsa_exception_int_div_zero 0
	.end_amdhsa_kernel
	.text
.Lfunc_end0:
	.size	fft_rtc_fwd_len2700_factors_3_10_10_3_3_wgs_90_tpt_90_halfLds_sp_ip_CI_unitstride_sbrr_R2C_dirReg, .Lfunc_end0-fft_rtc_fwd_len2700_factors_3_10_10_3_3_wgs_90_tpt_90_halfLds_sp_ip_CI_unitstride_sbrr_R2C_dirReg
                                        ; -- End function
	.section	.AMDGPU.csdata,"",@progbits
; Kernel info:
; codeLenInByte = 20620
; NumSgprs: 34
; NumVgprs: 141
; ScratchSize: 0
; MemoryBound: 0
; FloatMode: 240
; IeeeMode: 1
; LDSByteSize: 0 bytes/workgroup (compile time only)
; SGPRBlocks: 4
; VGPRBlocks: 17
; NumSGPRsForWavesPerEU: 34
; NumVGPRsForWavesPerEU: 141
; Occupancy: 10
; WaveLimiterHint : 1
; COMPUTE_PGM_RSRC2:SCRATCH_EN: 0
; COMPUTE_PGM_RSRC2:USER_SGPR: 2
; COMPUTE_PGM_RSRC2:TRAP_HANDLER: 0
; COMPUTE_PGM_RSRC2:TGID_X_EN: 1
; COMPUTE_PGM_RSRC2:TGID_Y_EN: 0
; COMPUTE_PGM_RSRC2:TGID_Z_EN: 0
; COMPUTE_PGM_RSRC2:TIDIG_COMP_CNT: 0
	.text
	.p2alignl 7, 3214868480
	.fill 96, 4, 3214868480
	.type	__hip_cuid_8c8070b99279be67,@object ; @__hip_cuid_8c8070b99279be67
	.section	.bss,"aw",@nobits
	.globl	__hip_cuid_8c8070b99279be67
__hip_cuid_8c8070b99279be67:
	.byte	0                               ; 0x0
	.size	__hip_cuid_8c8070b99279be67, 1

	.ident	"AMD clang version 19.0.0git (https://github.com/RadeonOpenCompute/llvm-project roc-6.4.0 25133 c7fe45cf4b819c5991fe208aaa96edf142730f1d)"
	.section	".note.GNU-stack","",@progbits
	.addrsig
	.addrsig_sym __hip_cuid_8c8070b99279be67
	.amdgpu_metadata
---
amdhsa.kernels:
  - .args:
      - .actual_access:  read_only
        .address_space:  global
        .offset:         0
        .size:           8
        .value_kind:     global_buffer
      - .offset:         8
        .size:           8
        .value_kind:     by_value
      - .actual_access:  read_only
        .address_space:  global
        .offset:         16
        .size:           8
        .value_kind:     global_buffer
      - .actual_access:  read_only
        .address_space:  global
        .offset:         24
        .size:           8
        .value_kind:     global_buffer
      - .offset:         32
        .size:           8
        .value_kind:     by_value
      - .actual_access:  read_only
        .address_space:  global
        .offset:         40
        .size:           8
        .value_kind:     global_buffer
      - .actual_access:  read_only
        .address_space:  global
        .offset:         48
        .size:           8
        .value_kind:     global_buffer
      - .offset:         56
        .size:           4
        .value_kind:     by_value
      - .actual_access:  read_only
        .address_space:  global
        .offset:         64
        .size:           8
        .value_kind:     global_buffer
      - .actual_access:  read_only
        .address_space:  global
        .offset:         72
        .size:           8
        .value_kind:     global_buffer
      - .address_space:  global
        .offset:         80
        .size:           8
        .value_kind:     global_buffer
    .group_segment_fixed_size: 0
    .kernarg_segment_align: 8
    .kernarg_segment_size: 88
    .language:       OpenCL C
    .language_version:
      - 2
      - 0
    .max_flat_workgroup_size: 90
    .name:           fft_rtc_fwd_len2700_factors_3_10_10_3_3_wgs_90_tpt_90_halfLds_sp_ip_CI_unitstride_sbrr_R2C_dirReg
    .private_segment_fixed_size: 0
    .sgpr_count:     34
    .sgpr_spill_count: 0
    .symbol:         fft_rtc_fwd_len2700_factors_3_10_10_3_3_wgs_90_tpt_90_halfLds_sp_ip_CI_unitstride_sbrr_R2C_dirReg.kd
    .uniform_work_group_size: 1
    .uses_dynamic_stack: false
    .vgpr_count:     141
    .vgpr_spill_count: 0
    .wavefront_size: 32
    .workgroup_processor_mode: 1
amdhsa.target:   amdgcn-amd-amdhsa--gfx1201
amdhsa.version:
  - 1
  - 2
...

	.end_amdgpu_metadata
